;; amdgpu-corpus repo=ROCm/rocFFT kind=compiled arch=gfx906 opt=O3
	.text
	.amdgcn_target "amdgcn-amd-amdhsa--gfx906"
	.amdhsa_code_object_version 6
	.protected	fft_rtc_fwd_len1260_factors_2_2_3_3_5_7_wgs_63_tpt_63_halfLds_half_op_CI_CI_unitstride_sbrr_R2C_dirReg ; -- Begin function fft_rtc_fwd_len1260_factors_2_2_3_3_5_7_wgs_63_tpt_63_halfLds_half_op_CI_CI_unitstride_sbrr_R2C_dirReg
	.globl	fft_rtc_fwd_len1260_factors_2_2_3_3_5_7_wgs_63_tpt_63_halfLds_half_op_CI_CI_unitstride_sbrr_R2C_dirReg
	.p2align	8
	.type	fft_rtc_fwd_len1260_factors_2_2_3_3_5_7_wgs_63_tpt_63_halfLds_half_op_CI_CI_unitstride_sbrr_R2C_dirReg,@function
fft_rtc_fwd_len1260_factors_2_2_3_3_5_7_wgs_63_tpt_63_halfLds_half_op_CI_CI_unitstride_sbrr_R2C_dirReg: ; @fft_rtc_fwd_len1260_factors_2_2_3_3_5_7_wgs_63_tpt_63_halfLds_half_op_CI_CI_unitstride_sbrr_R2C_dirReg
; %bb.0:
	s_load_dwordx4 s[8:11], s[4:5], 0x58
	s_load_dwordx4 s[12:15], s[4:5], 0x0
	;; [unrolled: 1-line block ×3, first 2 shown]
	v_mul_u32_u24_e32 v1, 0x411, v0
	v_mov_b32_e32 v3, 0
	v_mov_b32_e32 v22, 0
	s_waitcnt lgkmcnt(0)
	v_cmp_lt_u64_e64 s[0:1], s[14:15], 2
	v_add_u32_sdwa v7, s6, v1 dst_sel:DWORD dst_unused:UNUSED_PAD src0_sel:DWORD src1_sel:WORD_1
	v_mov_b32_e32 v8, v3
	s_and_b64 vcc, exec, s[0:1]
	v_mov_b32_e32 v23, 0
	s_cbranch_vccnz .LBB0_8
; %bb.1:
	s_load_dwordx2 s[0:1], s[4:5], 0x10
	s_add_u32 s2, s18, 8
	s_addc_u32 s3, s19, 0
	s_add_u32 s6, s16, 8
	s_addc_u32 s7, s17, 0
	v_mov_b32_e32 v22, 0
	s_waitcnt lgkmcnt(0)
	s_add_u32 s20, s0, 8
	v_mov_b32_e32 v23, 0
	v_mov_b32_e32 v1, v22
	s_addc_u32 s21, s1, 0
	s_mov_b64 s[22:23], 1
	v_mov_b32_e32 v2, v23
.LBB0_2:                                ; =>This Inner Loop Header: Depth=1
	s_load_dwordx2 s[24:25], s[20:21], 0x0
                                        ; implicit-def: $vgpr5_vgpr6
	s_waitcnt lgkmcnt(0)
	v_or_b32_e32 v4, s25, v8
	v_cmp_ne_u64_e32 vcc, 0, v[3:4]
	s_and_saveexec_b64 s[0:1], vcc
	s_xor_b64 s[26:27], exec, s[0:1]
	s_cbranch_execz .LBB0_4
; %bb.3:                                ;   in Loop: Header=BB0_2 Depth=1
	v_cvt_f32_u32_e32 v4, s24
	v_cvt_f32_u32_e32 v5, s25
	s_sub_u32 s0, 0, s24
	s_subb_u32 s1, 0, s25
	v_mac_f32_e32 v4, 0x4f800000, v5
	v_rcp_f32_e32 v4, v4
	v_mul_f32_e32 v4, 0x5f7ffffc, v4
	v_mul_f32_e32 v5, 0x2f800000, v4
	v_trunc_f32_e32 v5, v5
	v_mac_f32_e32 v4, 0xcf800000, v5
	v_cvt_u32_f32_e32 v5, v5
	v_cvt_u32_f32_e32 v4, v4
	v_mul_lo_u32 v6, s0, v5
	v_mul_hi_u32 v9, s0, v4
	v_mul_lo_u32 v11, s1, v4
	v_mul_lo_u32 v10, s0, v4
	v_add_u32_e32 v6, v9, v6
	v_add_u32_e32 v6, v6, v11
	v_mul_hi_u32 v9, v4, v10
	v_mul_lo_u32 v11, v4, v6
	v_mul_hi_u32 v13, v4, v6
	v_mul_hi_u32 v12, v5, v10
	v_mul_lo_u32 v10, v5, v10
	v_mul_hi_u32 v14, v5, v6
	v_add_co_u32_e32 v9, vcc, v9, v11
	v_addc_co_u32_e32 v11, vcc, 0, v13, vcc
	v_mul_lo_u32 v6, v5, v6
	v_add_co_u32_e32 v9, vcc, v9, v10
	v_addc_co_u32_e32 v9, vcc, v11, v12, vcc
	v_addc_co_u32_e32 v10, vcc, 0, v14, vcc
	v_add_co_u32_e32 v6, vcc, v9, v6
	v_addc_co_u32_e32 v9, vcc, 0, v10, vcc
	v_add_co_u32_e32 v4, vcc, v4, v6
	v_addc_co_u32_e32 v5, vcc, v5, v9, vcc
	v_mul_lo_u32 v6, s0, v5
	v_mul_hi_u32 v9, s0, v4
	v_mul_lo_u32 v10, s1, v4
	v_mul_lo_u32 v11, s0, v4
	v_add_u32_e32 v6, v9, v6
	v_add_u32_e32 v6, v6, v10
	v_mul_lo_u32 v12, v4, v6
	v_mul_hi_u32 v13, v4, v11
	v_mul_hi_u32 v14, v4, v6
	v_mul_hi_u32 v10, v5, v11
	v_mul_lo_u32 v11, v5, v11
	v_mul_hi_u32 v9, v5, v6
	v_add_co_u32_e32 v12, vcc, v13, v12
	v_addc_co_u32_e32 v13, vcc, 0, v14, vcc
	v_mul_lo_u32 v6, v5, v6
	v_add_co_u32_e32 v11, vcc, v12, v11
	v_addc_co_u32_e32 v10, vcc, v13, v10, vcc
	v_addc_co_u32_e32 v9, vcc, 0, v9, vcc
	v_add_co_u32_e32 v6, vcc, v10, v6
	v_addc_co_u32_e32 v9, vcc, 0, v9, vcc
	v_add_co_u32_e32 v6, vcc, v4, v6
	v_addc_co_u32_e32 v9, vcc, v5, v9, vcc
	v_mad_u64_u32 v[4:5], s[0:1], v7, v9, 0
	v_mul_hi_u32 v10, v7, v6
	v_add_co_u32_e32 v11, vcc, v10, v4
	v_addc_co_u32_e32 v12, vcc, 0, v5, vcc
	v_mad_u64_u32 v[4:5], s[0:1], v8, v6, 0
	v_mad_u64_u32 v[9:10], s[0:1], v8, v9, 0
	v_add_co_u32_e32 v4, vcc, v11, v4
	v_addc_co_u32_e32 v4, vcc, v12, v5, vcc
	v_addc_co_u32_e32 v5, vcc, 0, v10, vcc
	v_add_co_u32_e32 v9, vcc, v4, v9
	v_addc_co_u32_e32 v6, vcc, 0, v5, vcc
	v_mul_lo_u32 v10, s25, v9
	v_mul_lo_u32 v11, s24, v6
	v_mad_u64_u32 v[4:5], s[0:1], s24, v9, 0
	v_add3_u32 v5, v5, v11, v10
	v_sub_u32_e32 v10, v8, v5
	v_mov_b32_e32 v11, s25
	v_sub_co_u32_e32 v4, vcc, v7, v4
	v_subb_co_u32_e64 v10, s[0:1], v10, v11, vcc
	v_subrev_co_u32_e64 v11, s[0:1], s24, v4
	v_subbrev_co_u32_e64 v10, s[0:1], 0, v10, s[0:1]
	v_cmp_le_u32_e64 s[0:1], s25, v10
	v_cndmask_b32_e64 v12, 0, -1, s[0:1]
	v_cmp_le_u32_e64 s[0:1], s24, v11
	v_cndmask_b32_e64 v11, 0, -1, s[0:1]
	v_cmp_eq_u32_e64 s[0:1], s25, v10
	v_cndmask_b32_e64 v10, v12, v11, s[0:1]
	v_add_co_u32_e64 v11, s[0:1], 2, v9
	v_addc_co_u32_e64 v12, s[0:1], 0, v6, s[0:1]
	v_add_co_u32_e64 v13, s[0:1], 1, v9
	v_addc_co_u32_e64 v14, s[0:1], 0, v6, s[0:1]
	v_subb_co_u32_e32 v5, vcc, v8, v5, vcc
	v_cmp_ne_u32_e64 s[0:1], 0, v10
	v_cmp_le_u32_e32 vcc, s25, v5
	v_cndmask_b32_e64 v10, v14, v12, s[0:1]
	v_cndmask_b32_e64 v12, 0, -1, vcc
	v_cmp_le_u32_e32 vcc, s24, v4
	v_cndmask_b32_e64 v4, 0, -1, vcc
	v_cmp_eq_u32_e32 vcc, s25, v5
	v_cndmask_b32_e32 v4, v12, v4, vcc
	v_cmp_ne_u32_e32 vcc, 0, v4
	v_cndmask_b32_e64 v4, v13, v11, s[0:1]
	v_cndmask_b32_e32 v6, v6, v10, vcc
	v_cndmask_b32_e32 v5, v9, v4, vcc
.LBB0_4:                                ;   in Loop: Header=BB0_2 Depth=1
	s_andn2_saveexec_b64 s[0:1], s[26:27]
	s_cbranch_execz .LBB0_6
; %bb.5:                                ;   in Loop: Header=BB0_2 Depth=1
	v_cvt_f32_u32_e32 v4, s24
	s_sub_i32 s26, 0, s24
	v_rcp_iflag_f32_e32 v4, v4
	v_mul_f32_e32 v4, 0x4f7ffffe, v4
	v_cvt_u32_f32_e32 v4, v4
	v_mul_lo_u32 v5, s26, v4
	v_mul_hi_u32 v5, v4, v5
	v_add_u32_e32 v4, v4, v5
	v_mul_hi_u32 v4, v7, v4
	v_mul_lo_u32 v5, v4, s24
	v_add_u32_e32 v6, 1, v4
	v_sub_u32_e32 v5, v7, v5
	v_subrev_u32_e32 v9, s24, v5
	v_cmp_le_u32_e32 vcc, s24, v5
	v_cndmask_b32_e32 v5, v5, v9, vcc
	v_cndmask_b32_e32 v4, v4, v6, vcc
	v_add_u32_e32 v6, 1, v4
	v_cmp_le_u32_e32 vcc, s24, v5
	v_cndmask_b32_e32 v5, v4, v6, vcc
	v_mov_b32_e32 v6, v3
.LBB0_6:                                ;   in Loop: Header=BB0_2 Depth=1
	s_or_b64 exec, exec, s[0:1]
	v_mul_lo_u32 v4, v6, s24
	v_mul_lo_u32 v11, v5, s25
	v_mad_u64_u32 v[9:10], s[0:1], v5, s24, 0
	s_load_dwordx2 s[0:1], s[6:7], 0x0
	s_load_dwordx2 s[24:25], s[2:3], 0x0
	v_add3_u32 v4, v10, v11, v4
	v_sub_co_u32_e32 v7, vcc, v7, v9
	v_subb_co_u32_e32 v4, vcc, v8, v4, vcc
	s_waitcnt lgkmcnt(0)
	v_mul_lo_u32 v8, s0, v4
	v_mul_lo_u32 v9, s1, v7
	v_mad_u64_u32 v[22:23], s[0:1], s0, v7, v[22:23]
	s_add_u32 s22, s22, 1
	s_addc_u32 s23, s23, 0
	s_add_u32 s2, s2, 8
	v_mul_lo_u32 v4, s24, v4
	v_mul_lo_u32 v10, s25, v7
	v_mad_u64_u32 v[1:2], s[0:1], s24, v7, v[1:2]
	v_add3_u32 v23, v9, v23, v8
	s_addc_u32 s3, s3, 0
	v_mov_b32_e32 v7, s14
	s_add_u32 s6, s6, 8
	v_mov_b32_e32 v8, s15
	s_addc_u32 s7, s7, 0
	v_cmp_ge_u64_e32 vcc, s[22:23], v[7:8]
	s_add_u32 s20, s20, 8
	v_add3_u32 v2, v10, v2, v4
	s_addc_u32 s21, s21, 0
	s_cbranch_vccnz .LBB0_9
; %bb.7:                                ;   in Loop: Header=BB0_2 Depth=1
	v_mov_b32_e32 v8, v6
	v_mov_b32_e32 v7, v5
	s_branch .LBB0_2
.LBB0_8:
	v_mov_b32_e32 v1, v22
	v_mov_b32_e32 v5, v7
	;; [unrolled: 1-line block ×4, first 2 shown]
.LBB0_9:
	s_load_dwordx2 s[4:5], s[4:5], 0x28
	s_lshl_b64 s[6:7], s[14:15], 3
	s_add_u32 s2, s18, s6
	s_addc_u32 s3, s19, s7
                                        ; implicit-def: $vgpr3
                                        ; implicit-def: $vgpr7
                                        ; implicit-def: $vgpr21
                                        ; implicit-def: $vgpr10
                                        ; implicit-def: $vgpr12
                                        ; implicit-def: $vgpr14
                                        ; implicit-def: $vgpr16
                                        ; implicit-def: $vgpr18
                                        ; implicit-def: $vgpr20
                                        ; implicit-def: $vgpr9
	s_waitcnt lgkmcnt(0)
	v_cmp_gt_u64_e64 s[0:1], s[4:5], v[5:6]
	v_cmp_le_u64_e32 vcc, s[4:5], v[5:6]
	s_and_saveexec_b64 s[4:5], vcc
	s_xor_b64 s[4:5], exec, s[4:5]
	s_cbranch_execz .LBB0_11
; %bb.10:
	s_mov_b32 s14, 0x4104105
	v_mul_hi_u32 v3, v0, s14
                                        ; implicit-def: $vgpr22_vgpr23
	v_mul_u32_u24_e32 v3, 63, v3
	v_sub_u32_e32 v3, v0, v3
	v_add_u32_e32 v7, 63, v3
	v_add_u32_e32 v21, 0x7e, v3
	;; [unrolled: 1-line block ×9, first 2 shown]
                                        ; implicit-def: $vgpr0
.LBB0_11:
	s_andn2_saveexec_b64 s[4:5], s[4:5]
	s_cbranch_execz .LBB0_13
; %bb.12:
	s_add_u32 s6, s16, s6
	s_addc_u32 s7, s17, s7
	s_load_dwordx2 s[6:7], s[6:7], 0x0
	s_mov_b32 s14, 0x4104105
	v_mul_hi_u32 v3, v0, s14
	s_waitcnt lgkmcnt(0)
	v_mul_lo_u32 v4, s7, v5
	v_mul_lo_u32 v9, s6, v6
	v_mad_u64_u32 v[7:8], s[6:7], s6, v5, 0
	v_mul_u32_u24_e32 v3, 63, v3
	v_sub_u32_e32 v3, v0, v3
	v_add3_u32 v8, v8, v9, v4
	v_lshlrev_b64 v[7:8], 2, v[7:8]
	v_mov_b32_e32 v0, s9
	v_add_co_u32_e32 v4, vcc, s8, v7
	v_addc_co_u32_e32 v0, vcc, v0, v8, vcc
	v_lshlrev_b64 v[7:8], 2, v[22:23]
	v_lshlrev_b32_e32 v11, 2, v3
	v_add_co_u32_e32 v4, vcc, v4, v7
	v_addc_co_u32_e32 v0, vcc, v0, v8, vcc
	v_add_co_u32_e32 v7, vcc, v4, v11
	v_addc_co_u32_e32 v8, vcc, 0, v0, vcc
	v_add_co_u32_e32 v9, vcc, 0x1000, v7
	global_load_dword v0, v[7:8], off
	global_load_dword v4, v[7:8], off offset:252
	global_load_dword v13, v[7:8], off offset:504
	;; [unrolled: 1-line block ×15, first 2 shown]
	v_addc_co_u32_e32 v10, vcc, 0, v8, vcc
	global_load_dword v32, v[7:8], off offset:4032
	global_load_dword v33, v[9:10], off offset:188
	;; [unrolled: 1-line block ×4, first 2 shown]
	v_add_u32_e32 v8, 0, v11
	v_add_u32_e32 v9, 0x200, v8
	;; [unrolled: 1-line block ×17, first 2 shown]
	s_waitcnt vmcnt(18)
	ds_write2_b32 v8, v0, v4 offset1:63
	s_waitcnt vmcnt(16)
	ds_write2_b32 v8, v13, v15 offset0:126 offset1:189
	s_waitcnt vmcnt(14)
	ds_write2_b32 v9, v17, v19 offset0:124 offset1:187
	s_waitcnt vmcnt(12)
	ds_write2_b32 v11, v22, v23 offset0:122 offset1:185
	s_waitcnt vmcnt(10)
	ds_write2_b32 v36, v24, v25 offset0:120 offset1:183
	s_waitcnt vmcnt(8)
	ds_write2_b32 v37, v26, v27 offset0:118 offset1:181
	s_waitcnt vmcnt(6)
	ds_write2_b32 v38, v28, v29 offset0:116 offset1:179
	s_waitcnt vmcnt(4)
	ds_write2_b32 v39, v30, v31 offset0:114 offset1:177
	s_waitcnt vmcnt(2)
	ds_write2_b32 v40, v32, v33 offset0:112 offset1:175
	s_waitcnt vmcnt(0)
	ds_write2_b32 v41, v34, v35 offset0:110 offset1:173
	v_add_u32_e32 v9, 0x237, v3
.LBB0_13:
	s_or_b64 exec, exec, s[4:5]
	v_lshlrev_b32_e32 v4, 2, v3
	v_add_u32_e32 v11, 0, v4
	v_add_u32_e32 v0, 0x600, v11
	s_load_dwordx2 s[4:5], s[2:3], 0x0
	s_waitcnt lgkmcnt(0)
	; wave barrier
	s_waitcnt lgkmcnt(0)
	ds_read2_b32 v[22:23], v0 offset0:120 offset1:183
	v_add_u32_e32 v43, 0x1000, v11
	v_add_u32_e32 v0, 0x200, v11
	;; [unrolled: 1-line block ×4, first 2 shown]
	ds_read2_b32 v[24:25], v0 offset0:124 offset1:187
	v_add_u32_e32 v52, 0xc00, v11
	v_add_u32_e32 v8, 0xa00, v11
	;; [unrolled: 1-line block ×3, first 2 shown]
	ds_read2_b32 v[26:27], v43 offset0:110 offset1:173
	ds_read2_b32 v[28:29], v47 offset0:122 offset1:185
	;; [unrolled: 1-line block ×5, first 2 shown]
	ds_read2_b32 v[34:35], v11 offset1:63
	ds_read2_b32 v[39:40], v57 offset0:118 offset1:181
	ds_read2_b32 v[41:42], v8 offset0:116 offset1:179
	v_add_u32_e32 v0, v11, v4
	s_waitcnt lgkmcnt(0)
	; wave barrier
	s_waitcnt lgkmcnt(0)
	v_pk_add_f16 v13, v34, v39 neg_lo:[0,1] neg_hi:[0,1]
	v_pk_fma_f16 v15, v34, 2.0, v13 op_sel_hi:[1,0,1] neg_lo:[0,0,1] neg_hi:[0,0,1]
	ds_write2_b32 v0, v15, v13 offset1:1
	v_pk_add_f16 v0, v35, v40 neg_lo:[0,1] neg_hi:[0,1]
	v_pk_fma_f16 v13, v35, 2.0, v0 op_sel_hi:[1,0,1] neg_lo:[0,0,1] neg_hi:[0,0,1]
	v_lshl_add_u32 v35, v7, 3, 0
	ds_write2_b32 v35, v13, v0 offset1:1
	v_pk_add_f16 v0, v37, v41 neg_lo:[0,1] neg_hi:[0,1]
	v_lshl_add_u32 v36, v21, 3, 0
	v_pk_fma_f16 v13, v37, 2.0, v0 op_sel_hi:[1,0,1] neg_lo:[0,0,1] neg_hi:[0,0,1]
	ds_write2_b32 v36, v13, v0 offset1:1
	v_pk_add_f16 v0, v38, v42 neg_lo:[0,1] neg_hi:[0,1]
	v_pk_fma_f16 v13, v38, 2.0, v0 op_sel_hi:[1,0,1] neg_lo:[0,0,1] neg_hi:[0,0,1]
	v_lshl_add_u32 v19, v10, 3, 0
	ds_write2_b32 v19, v13, v0 offset1:1
	v_pk_add_f16 v0, v24, v32 neg_lo:[0,1] neg_hi:[0,1]
	v_lshl_add_u32 v34, v12, 3, 0
	;; [unrolled: 8-line block ×4, first 2 shown]
	v_pk_fma_f16 v13, v22, 2.0, v0 op_sel_hi:[1,0,1] neg_lo:[0,0,1] neg_hi:[0,0,1]
	ds_write2_b32 v15, v13, v0 offset1:1
	v_pk_add_f16 v13, v23, v27 neg_lo:[0,1] neg_hi:[0,1]
	v_pk_fma_f16 v22, v23, 2.0, v13 op_sel_hi:[1,0,1] neg_lo:[0,0,1] neg_hi:[0,0,1]
	v_lshl_add_u32 v0, v9, 3, 0
	v_and_b32_e32 v26, 1, v10
	v_and_b32_e32 v27, 1, v3
	ds_write2_b32 v0, v22, v13 offset1:1
	v_lshlrev_b32_e32 v13, 2, v26
	v_lshlrev_b32_e32 v22, 2, v27
	s_waitcnt lgkmcnt(0)
	; wave barrier
	s_waitcnt lgkmcnt(0)
	global_load_dword v13, v13, s[12:13]
	v_and_b32_e32 v29, 1, v9
	global_load_dword v28, v22, s[12:13]
	v_lshlrev_b32_e32 v22, 2, v29
	global_load_dword v30, v22, s[12:13]
	v_and_b32_e32 v31, 1, v18
	v_lshlrev_b32_e32 v22, 2, v31
	global_load_dword v32, v22, s[12:13]
	v_and_b32_e32 v33, 1, v14
	;; [unrolled: 3-line block ×3, first 2 shown]
	v_lshlrev_b32_e32 v22, 2, v38
	global_load_dword v39, v22, s[12:13]
	ds_read2_b32 v[22:23], v8 offset0:116 offset1:179
	ds_read2_b32 v[24:25], v43 offset0:110 offset1:173
	s_mov_b32 s2, 0xffff
	s_movk_i32 s3, 0x7c
	v_lshlrev_b32_e32 v45, 2, v10
	v_lshlrev_b32_e32 v55, 2, v12
	;; [unrolled: 1-line block ×3, first 2 shown]
	v_sub_u32_e32 v71, v19, v45
	v_sub_u32_e32 v72, v34, v55
	;; [unrolled: 1-line block ×3, first 2 shown]
	s_movk_i32 s6, 0x2fc
	v_cmp_gt_u32_e32 vcc, 42, v3
	s_waitcnt vmcnt(5) lgkmcnt(1)
	v_pk_mul_f16 v8, v13, v23 op_sel:[0,1]
	v_pk_fma_f16 v46, v13, v23, v8 op_sel:[0,0,1] op_sel_hi:[1,1,0] neg_lo:[0,0,1] neg_hi:[0,0,1]
	s_waitcnt vmcnt(4)
	v_pk_mul_f16 v41, v28, v22 op_sel:[0,1]
	v_pk_fma_f16 v49, v13, v23, v8 op_sel:[0,0,1] op_sel_hi:[1,0,0]
	v_pk_fma_f16 v50, v28, v22, v41 op_sel:[0,0,1] op_sel_hi:[1,1,0] neg_lo:[0,0,1] neg_hi:[0,0,1]
	v_pk_fma_f16 v51, v28, v22, v41 op_sel:[0,0,1] op_sel_hi:[1,0,0]
	ds_read2_b32 v[22:23], v48 offset0:112 offset1:175
	s_waitcnt vmcnt(3) lgkmcnt(1)
	v_pk_mul_f16 v8, v25, v30 op_sel:[0,1]
	v_pk_fma_f16 v53, v25, v30, v8 op_sel:[0,0,1] op_sel_hi:[1,1,0] neg_lo:[0,0,1] neg_hi:[0,0,1]
	v_pk_fma_f16 v30, v25, v30, v8 op_sel:[0,0,1] op_sel_hi:[1,0,0]
	v_pk_mul_f16 v8, v24, v28 op_sel:[0,1]
	v_pk_fma_f16 v54, v24, v28, v8 op_sel:[0,0,1] op_sel_hi:[1,1,0] neg_lo:[0,0,1] neg_hi:[0,0,1]
	v_pk_fma_f16 v58, v24, v28, v8 op_sel:[0,0,1] op_sel_hi:[1,0,0]
	s_waitcnt vmcnt(2) lgkmcnt(0)
	v_pk_mul_f16 v8, v23, v32 op_sel:[0,1]
	ds_read2_b32 v[24:25], v52 offset0:114 offset1:177
	v_pk_fma_f16 v59, v23, v32, v8 op_sel:[0,0,1] op_sel_hi:[1,1,0] neg_lo:[0,0,1] neg_hi:[0,0,1]
	v_pk_fma_f16 v32, v23, v32, v8 op_sel:[0,0,1] op_sel_hi:[1,0,0]
	v_pk_mul_f16 v8, v22, v28 op_sel:[0,1]
	v_pk_fma_f16 v60, v22, v28, v8 op_sel:[0,0,1] op_sel_hi:[1,1,0] neg_lo:[0,0,1] neg_hi:[0,0,1]
	v_pk_fma_f16 v61, v22, v28, v8 op_sel:[0,0,1] op_sel_hi:[1,0,0]
	ds_read2_b32 v[22:23], v57 offset0:118 offset1:181
	s_waitcnt vmcnt(1) lgkmcnt(1)
	v_pk_mul_f16 v8, v25, v37 op_sel:[0,1]
	v_pk_fma_f16 v62, v25, v37, v8 op_sel:[0,0,1] op_sel_hi:[1,1,0] neg_lo:[0,0,1] neg_hi:[0,0,1]
	v_pk_fma_f16 v25, v25, v37, v8 op_sel:[0,0,1] op_sel_hi:[1,0,0]
	v_pk_mul_f16 v8, v24, v28 op_sel:[0,1]
	v_pk_fma_f16 v63, v24, v28, v8 op_sel:[0,0,1] op_sel_hi:[1,1,0] neg_lo:[0,0,1] neg_hi:[0,0,1]
	v_pk_fma_f16 v24, v24, v28, v8 op_sel:[0,0,1] op_sel_hi:[1,0,0]
	s_waitcnt vmcnt(0) lgkmcnt(0)
	v_pk_mul_f16 v8, v39, v23 op_sel:[0,1]
	v_pk_fma_f16 v64, v39, v23, v8 op_sel:[0,0,1] op_sel_hi:[1,1,0] neg_lo:[0,0,1] neg_hi:[0,0,1]
	v_pk_fma_f16 v23, v39, v23, v8 op_sel:[0,0,1] op_sel_hi:[1,0,0]
	v_pk_mul_f16 v8, v28, v22 op_sel:[0,1]
	v_pk_fma_f16 v13, v28, v22, v8 op_sel:[0,0,1] op_sel_hi:[1,1,0] neg_lo:[0,0,1] neg_hi:[0,0,1]
	v_pk_fma_f16 v8, v28, v22, v8 op_sel:[0,0,1] op_sel_hi:[1,0,0]
	v_bfi_b32 v22, s2, v13, v8
	v_lshlrev_b32_e32 v8, 2, v18
	v_sub_u32_e32 v13, v42, v8
	v_lshlrev_b32_e32 v37, 2, v20
	ds_read_b32 v65, v13
	v_sub_u32_e32 v41, v15, v37
	v_lshlrev_b32_e32 v13, 2, v9
	v_sub_u32_e32 v44, v0, v13
	ds_read_b32 v66, v41
	ds_read_b32 v67, v44
	v_lshlrev_b32_e32 v41, 1, v3
	v_lshlrev_b32_e32 v28, 2, v16
	v_and_or_b32 v41, v41, s3, v27
	v_sub_u32_e32 v39, v40, v28
	v_lshl_add_u32 v68, v41, 2, 0
	v_lshlrev_b32_e32 v41, 2, v7
	v_lshlrev_b32_e32 v44, 2, v21
	v_sub_u32_e32 v69, v35, v41
	v_sub_u32_e32 v70, v36, v44
	ds_read_b32 v74, v11
	ds_read_b32 v75, v69
	;; [unrolled: 1-line block ×7, first 2 shown]
	s_waitcnt lgkmcnt(6)
	v_pk_add_f16 v22, v74, v22 neg_lo:[0,1] neg_hi:[0,1]
	v_pk_fma_f16 v74, v74, 2.0, v22 op_sel_hi:[1,0,1] neg_lo:[0,0,1] neg_hi:[0,0,1]
	s_waitcnt lgkmcnt(0)
	; wave barrier
	s_waitcnt lgkmcnt(0)
	ds_write2_b32 v68, v74, v22 offset1:2
	s_movk_i32 s3, 0xfc
	v_lshlrev_b32_e32 v22, 1, v7
	v_bfi_b32 v23, s2, v64, v23
	v_and_or_b32 v22, v22, s3, v38
	v_pk_add_f16 v23, v75, v23 neg_lo:[0,1] neg_hi:[0,1]
	v_lshl_add_u32 v22, v22, 2, 0
	v_pk_fma_f16 v38, v75, 2.0, v23 op_sel_hi:[1,0,1] neg_lo:[0,0,1] neg_hi:[0,0,1]
	ds_write2_b32 v22, v38, v23 offset1:2
	v_bfi_b32 v22, s2, v50, v51
	s_movk_i32 s3, 0x1fc
	v_lshlrev_b32_e32 v23, 1, v21
	v_and_or_b32 v23, v23, s3, v27
	v_pk_add_f16 v22, v76, v22 neg_lo:[0,1] neg_hi:[0,1]
	v_lshl_add_u32 v23, v23, 2, 0
	v_pk_fma_f16 v38, v76, 2.0, v22 op_sel_hi:[1,0,1] neg_lo:[0,0,1] neg_hi:[0,0,1]
	ds_write2_b32 v23, v38, v22 offset1:2
	v_lshlrev_b32_e32 v22, 1, v10
	v_bfi_b32 v23, s2, v46, v49
	v_and_or_b32 v22, v22, s3, v26
	v_pk_add_f16 v23, v77, v23 neg_lo:[0,1] neg_hi:[0,1]
	v_lshl_add_u32 v22, v22, 2, 0
	v_pk_fma_f16 v26, v77, 2.0, v23 op_sel_hi:[1,0,1] neg_lo:[0,0,1] neg_hi:[0,0,1]
	ds_write2_b32 v22, v26, v23 offset1:2
	v_bfi_b32 v22, s2, v63, v24
	s_movk_i32 s3, 0x3fc
	v_lshlrev_b32_e32 v23, 1, v12
	v_and_or_b32 v23, v23, s3, v27
	v_pk_add_f16 v22, v78, v22 neg_lo:[0,1] neg_hi:[0,1]
	v_lshl_add_u32 v23, v23, 2, 0
	v_pk_fma_f16 v24, v78, 2.0, v22 op_sel_hi:[1,0,1] neg_lo:[0,0,1] neg_hi:[0,0,1]
	ds_write2_b32 v23, v24, v22 offset1:2
	v_lshlrev_b32_e32 v22, 1, v14
	v_bfi_b32 v23, s2, v62, v25
	v_and_or_b32 v22, v22, s6, v33
	v_pk_add_f16 v23, v79, v23 neg_lo:[0,1] neg_hi:[0,1]
	v_lshl_add_u32 v22, v22, 2, 0
	v_pk_fma_f16 v24, v79, 2.0, v23 op_sel_hi:[1,0,1] neg_lo:[0,0,1] neg_hi:[0,0,1]
	ds_write2_b32 v22, v24, v23 offset1:2
	v_bfi_b32 v22, s2, v60, v61
	v_lshlrev_b32_e32 v23, 1, v16
	v_and_or_b32 v23, v23, s3, v27
	v_pk_add_f16 v22, v39, v22 neg_lo:[0,1] neg_hi:[0,1]
	v_lshl_add_u32 v23, v23, 2, 0
	v_pk_fma_f16 v24, v39, 2.0, v22 op_sel_hi:[1,0,1] neg_lo:[0,0,1] neg_hi:[0,0,1]
	ds_write2_b32 v23, v24, v22 offset1:2
	v_lshlrev_b32_e32 v22, 1, v18
	v_bfi_b32 v23, s2, v59, v32
	v_and_or_b32 v22, v22, s3, v31
	v_pk_add_f16 v23, v65, v23 neg_lo:[0,1] neg_hi:[0,1]
	v_lshl_add_u32 v22, v22, 2, 0
	v_pk_fma_f16 v24, v65, 2.0, v23 op_sel_hi:[1,0,1] neg_lo:[0,0,1] neg_hi:[0,0,1]
	ds_write2_b32 v22, v24, v23 offset1:2
	s_movk_i32 s3, 0x7fc
	v_lshlrev_b32_e32 v22, 1, v20
	v_bfi_b32 v23, s2, v54, v58
	v_and_or_b32 v22, v22, s3, v27
	v_pk_add_f16 v23, v66, v23 neg_lo:[0,1] neg_hi:[0,1]
	v_lshl_add_u32 v22, v22, 2, 0
	v_pk_fma_f16 v24, v66, 2.0, v23 op_sel_hi:[1,0,1] neg_lo:[0,0,1] neg_hi:[0,0,1]
	ds_write2_b32 v22, v24, v23 offset1:2
	s_movk_i32 s3, 0x4fc
	v_lshlrev_b32_e32 v22, 1, v9
	v_bfi_b32 v23, s2, v53, v30
	v_and_or_b32 v22, v22, s3, v29
	v_pk_add_f16 v51, v67, v23 neg_lo:[0,1] neg_hi:[0,1]
	v_lshl_add_u32 v22, v22, 2, 0
	v_pk_fma_f16 v39, v67, 2.0, v51 op_sel_hi:[1,0,1] neg_lo:[0,0,1] neg_hi:[0,0,1]
	ds_write2_b32 v22, v39, v51 offset1:2
	v_sub_u32_e32 v58, 0, v28
	s_waitcnt lgkmcnt(0)
	; wave barrier
	s_waitcnt lgkmcnt(0)
	ds_read_b32 v50, v70
	ds_read_b32 v49, v71
	;; [unrolled: 1-line block ×6, first 2 shown]
	ds_read2_b32 v[26:27], v47 offset0:164 offset1:227
	ds_read2_b32 v[28:29], v52 offset0:72 offset1:135
	;; [unrolled: 1-line block ×6, first 2 shown]
	v_add_u32_e32 v43, v40, v58
	v_lshrrev_b32_e32 v40, 16, v39
	v_lshrrev_b32_e32 v57, 16, v51
                                        ; implicit-def: $vgpr59
                                        ; implicit-def: $vgpr58
	s_and_saveexec_b64 s[2:3], vcc
	s_cbranch_execz .LBB0_15
; %bb.14:
	ds_read_b32 v39, v43
	ds_read_b32 v51, v11 offset:3192
	ds_read_b32 v58, v11 offset:4872
	s_waitcnt lgkmcnt(2)
	v_lshrrev_b32_e32 v40, 16, v39
	s_waitcnt lgkmcnt(1)
	v_lshrrev_b32_e32 v57, 16, v51
	;; [unrolled: 2-line block ×3, first 2 shown]
.LBB0_15:
	s_or_b64 exec, exec, s[2:3]
	v_and_b32_e32 v72, 3, v21
	v_lshlrev_b32_e32 v47, 3, v72
	v_and_b32_e32 v73, 3, v10
	global_load_dwordx2 v[60:61], v47, s[12:13] offset:8
	v_lshlrev_b32_e32 v47, 3, v73
	v_and_b32_e32 v74, 3, v7
	global_load_dwordx2 v[62:63], v47, s[12:13] offset:8
	v_lshlrev_b32_e32 v47, 3, v74
	v_and_b32_e32 v75, 3, v3
	global_load_dwordx2 v[64:65], v47, s[12:13] offset:8
	v_lshlrev_b32_e32 v47, 3, v75
	v_and_b32_e32 v76, 3, v14
	global_load_dwordx2 v[66:67], v47, s[12:13] offset:8
	v_lshlrev_b32_e32 v47, 3, v76
	v_and_b32_e32 v52, 3, v16
	global_load_dwordx2 v[68:69], v47, s[12:13] offset:8
	v_lshlrev_b32_e32 v47, 3, v52
	global_load_dwordx2 v[70:71], v47, s[12:13] offset:8
	s_waitcnt lgkmcnt(1)
	v_lshrrev_b32_e32 v81, 16, v24
	v_lshrrev_b32_e32 v83, 16, v32
	;; [unrolled: 1-line block ×8, first 2 shown]
	s_waitcnt lgkmcnt(0)
	v_lshrrev_b32_e32 v82, 16, v22
	v_lshrrev_b32_e32 v88, 16, v29
	;; [unrolled: 1-line block ×4, first 2 shown]
	v_sub_u32_e32 v47, 0, v44
	v_sub_u32_e32 v44, 0, v55
	v_lshrrev_b32_e32 v55, 16, v54
	s_movk_i32 s2, 0x3aee
	s_mov_b32 s3, 0xbaee
	v_sub_u32_e32 v48, 0, v41
	v_sub_u32_e32 v41, 0, v56
	v_lshrrev_b32_e32 v56, 16, v53
	v_lshrrev_b32_e32 v77, 16, v50
	;; [unrolled: 1-line block ×5, first 2 shown]
	s_waitcnt lgkmcnt(0)
	; wave barrier
	v_sub_u32_e32 v45, 0, v45
	s_waitcnt vmcnt(5)
	v_mul_f16_sdwa v93, v60, v83 dst_sel:DWORD dst_unused:UNUSED_PAD src0_sel:WORD_1 src1_sel:DWORD
	v_mul_f16_sdwa v94, v60, v32 dst_sel:DWORD dst_unused:UNUSED_PAD src0_sel:WORD_1 src1_sel:DWORD
	;; [unrolled: 1-line block ×4, first 2 shown]
	s_waitcnt vmcnt(4)
	v_mul_f16_sdwa v97, v62, v85 dst_sel:DWORD dst_unused:UNUSED_PAD src0_sel:WORD_1 src1_sel:DWORD
	v_mul_f16_sdwa v98, v62, v33 dst_sel:DWORD dst_unused:UNUSED_PAD src0_sel:WORD_1 src1_sel:DWORD
	v_mul_f16_sdwa v100, v31, v63 dst_sel:DWORD dst_unused:UNUSED_PAD src0_sel:DWORD src1_sel:WORD_1
	s_waitcnt vmcnt(3)
	v_mul_f16_sdwa v101, v64, v87 dst_sel:DWORD dst_unused:UNUSED_PAD src0_sel:WORD_1 src1_sel:DWORD
	v_mul_f16_sdwa v102, v64, v27 dst_sel:DWORD dst_unused:UNUSED_PAD src0_sel:WORD_1 src1_sel:DWORD
	s_waitcnt vmcnt(2)
	v_mul_f16_sdwa v105, v66, v86 dst_sel:DWORD dst_unused:UNUSED_PAD src0_sel:WORD_1 src1_sel:DWORD
	v_mul_f16_sdwa v106, v66, v26 dst_sel:DWORD dst_unused:UNUSED_PAD src0_sel:WORD_1 src1_sel:DWORD
	v_mul_f16_sdwa v109, v81, v66 dst_sel:DWORD dst_unused:UNUSED_PAD src0_sel:DWORD src1_sel:WORD_1
	v_mul_f16_sdwa v110, v24, v66 dst_sel:DWORD dst_unused:UNUSED_PAD src0_sel:DWORD src1_sel:WORD_1
	s_waitcnt vmcnt(1)
	v_mul_f16_sdwa v113, v91, v68 dst_sel:DWORD dst_unused:UNUSED_PAD src0_sel:DWORD src1_sel:WORD_1
	v_mul_f16_sdwa v114, v25, v68 dst_sel:DWORD dst_unused:UNUSED_PAD src0_sel:DWORD src1_sel:WORD_1
	v_mul_f16_sdwa v99, v79, v63 dst_sel:DWORD dst_unused:UNUSED_PAD src0_sel:DWORD src1_sel:WORD_1
	v_mul_f16_sdwa v103, v65, v29 dst_sel:DWORD dst_unused:UNUSED_PAD src0_sel:WORD_1 src1_sel:DWORD
	v_mul_f16_sdwa v104, v65, v88 dst_sel:DWORD dst_unused:UNUSED_PAD src0_sel:WORD_1 src1_sel:DWORD
	v_mul_f16_sdwa v107, v67, v89 dst_sel:DWORD dst_unused:UNUSED_PAD src0_sel:WORD_1 src1_sel:DWORD
	v_mul_f16_sdwa v108, v67, v28 dst_sel:DWORD dst_unused:UNUSED_PAD src0_sel:WORD_1 src1_sel:DWORD
	v_mul_f16_sdwa v111, v22, v67 dst_sel:DWORD dst_unused:UNUSED_PAD src0_sel:DWORD src1_sel:WORD_1
	v_mul_f16_sdwa v112, v82, v67 dst_sel:DWORD dst_unused:UNUSED_PAD src0_sel:DWORD src1_sel:WORD_1
	v_fma_f16 v83, v60, v83, v94
	v_fma_f16 v84, v61, v84, v95
	v_fma_f16 v32, v60, v32, -v93
	v_fma_f16 v30, v61, v30, -v96
	;; [unrolled: 1-line block ×3, first 2 shown]
	v_fma_f16 v60, v62, v85, v98
	v_fma_f16 v61, v79, v63, v100
	;; [unrolled: 1-line block ×3, first 2 shown]
	v_fma_f16 v27, v64, v27, -v101
	v_fma_f16 v26, v66, v26, -v105
	v_fma_f16 v64, v66, v86, v106
	v_fma_f16 v79, v81, v66, v110
	v_fma_f16 v24, v24, v66, -v109
	v_fma_f16 v25, v25, v68, -v113
	v_fma_f16 v66, v91, v68, v114
	s_waitcnt vmcnt(0)
	v_mul_f16_sdwa v68, v57, v70 dst_sel:DWORD dst_unused:UNUSED_PAD src0_sel:DWORD src1_sel:WORD_1
	v_fma_f16 v31, v31, v63, -v99
	v_fma_f16 v63, v65, v88, v103
	v_fma_f16 v29, v65, v29, -v104
	v_fma_f16 v28, v67, v28, -v107
	v_fma_f16 v65, v67, v89, v108
	v_fma_f16 v81, v82, v67, v111
	v_fma_f16 v22, v22, v67, -v112
	v_mul_f16_sdwa v67, v92, v69 dst_sel:DWORD dst_unused:UNUSED_PAD src0_sel:DWORD src1_sel:WORD_1
	v_fma_f16 v68, v51, v70, -v68
	v_mul_f16_sdwa v51, v51, v70 dst_sel:DWORD dst_unused:UNUSED_PAD src0_sel:DWORD src1_sel:WORD_1
	;; [unrolled: 2-line block ×3, first 2 shown]
	v_fma_f16 v51, v57, v70, v51
	v_mul_f16_sdwa v57, v59, v71 dst_sel:DWORD dst_unused:UNUSED_PAD src0_sel:DWORD src1_sel:WORD_1
	v_fma_f16 v23, v92, v69, v23
	v_fma_f16 v57, v58, v71, -v57
	v_mul_f16_sdwa v58, v58, v71 dst_sel:DWORD dst_unused:UNUSED_PAD src0_sel:DWORD src1_sel:WORD_1
	v_add_f16_e32 v69, v26, v28
	v_fma_f16 v58, v59, v71, v58
	v_add_f16_e32 v59, v54, v26
	v_fma_f16 v54, v69, -0.5, v54
	v_sub_f16_e32 v69, v64, v65
	v_fma_f16 v70, v69, s2, v54
	v_fma_f16 v54, v69, s3, v54
	v_add_f16_e32 v69, v55, v64
	v_add_f16_e32 v64, v64, v65
	v_fma_f16 v55, v64, -0.5, v55
	v_sub_f16_e32 v26, v26, v28
	v_add_f16_e32 v64, v27, v29
	v_add_f16_e32 v59, v59, v28
	v_fma_f16 v28, v26, s3, v55
	v_fma_f16 v26, v26, s2, v55
	v_add_f16_e32 v55, v53, v27
	v_fma_f16 v53, v64, -0.5, v53
	v_sub_f16_e32 v64, v62, v63
	v_add_f16_e32 v69, v69, v65
	v_fma_f16 v65, v64, s2, v53
	v_fma_f16 v53, v64, s3, v53
	v_add_f16_e32 v64, v56, v62
	v_add_f16_e32 v62, v62, v63
	v_fma_f16 v56, v62, -0.5, v56
	v_sub_f16_e32 v27, v27, v29
	v_add_f16_e32 v62, v32, v30
	v_add_f16_e32 v55, v55, v29
	v_fma_f16 v29, v27, s3, v56
	v_fma_f16 v27, v27, s2, v56
	v_add_f16_e32 v56, v50, v32
	v_fma_f16 v50, v62, -0.5, v50
	v_sub_f16_e32 v62, v83, v84
	v_add_f16_e32 v64, v64, v63
	v_fma_f16 v63, v62, s2, v50
	v_fma_f16 v62, v62, s3, v50
	v_add_f16_e32 v50, v77, v83
	v_add_f16_e32 v71, v50, v84
	;; [unrolled: 1-line block ×4, first 2 shown]
	v_fma_f16 v50, v50, -0.5, v77
	v_sub_f16_e32 v30, v32, v30
	v_fma_f16 v32, v30, s3, v50
	v_fma_f16 v30, v30, s2, v50
	v_add_f16_e32 v50, v49, v33
	v_add_f16_e32 v77, v50, v31
	v_add_f16_e32 v50, v33, v31
	v_fma_f16 v49, v50, -0.5, v49
	v_sub_f16_e32 v50, v60, v61
	v_fma_f16 v82, v50, s2, v49
	v_fma_f16 v83, v50, s3, v49
	v_add_f16_e32 v49, v78, v60
	v_add_f16_e32 v84, v49, v61
	v_add_f16_e32 v49, v60, v61
	v_fma_f16 v49, v49, -0.5, v78
	v_sub_f16_e32 v31, v33, v31
	v_fma_f16 v33, v31, s3, v49
	v_fma_f16 v31, v31, s2, v49
	v_add_f16_e32 v49, v46, v24
	v_add_f16_e32 v60, v49, v22
	v_add_f16_e32 v49, v24, v22
	v_fma_f16 v46, v49, -0.5, v46
	v_sub_f16_e32 v49, v79, v81
	v_fma_f16 v61, v49, s2, v46
	v_fma_f16 v46, v49, s3, v46
	v_add_f16_e32 v49, v80, v79
	v_add_f16_e32 v78, v49, v81
	v_add_f16_e32 v49, v79, v81
	v_fma_f16 v49, v49, -0.5, v80
	v_sub_f16_e32 v22, v24, v22
	v_fma_f16 v24, v22, s3, v49
	v_fma_f16 v22, v22, s2, v49
	v_add_f16_e32 v49, v38, v25
	v_add_f16_e32 v79, v49, v67
	v_add_f16_e32 v49, v25, v67
	v_fma_f16 v38, v49, -0.5, v38
	v_sub_f16_e32 v49, v66, v23
	v_fma_f16 v80, v49, s2, v38
	v_fma_f16 v81, v49, s3, v38
	v_add_f16_e32 v38, v90, v66
	v_add_f16_e32 v85, v38, v23
	v_add_f16_e32 v23, v66, v23
	v_fma_f16 v23, v23, -0.5, v90
	v_sub_f16_e32 v25, v25, v67
	v_fma_f16 v66, v25, s3, v23
	v_fma_f16 v23, v25, s2, v23
	v_add_f16_e32 v25, v39, v68
	v_add_f16_e32 v38, v25, v57
	v_add_f16_e32 v25, v68, v57
	v_fma_f16 v25, v25, -0.5, v39
	v_sub_f16_e32 v39, v51, v58
	v_fma_f16 v49, v39, s2, v25
	v_fma_f16 v50, v39, s3, v25
	v_add_f16_e32 v25, v40, v51
	v_add_f16_e32 v39, v25, v58
	v_add_f16_e32 v25, v51, v58
	v_fma_f16 v25, v25, -0.5, v40
	v_sub_f16_e32 v40, v68, v57
	v_fma_f16 v51, v40, s3, v25
	v_fma_f16 v40, v40, s2, v25
	v_lshrrev_b32_e32 v25, 2, v3
	v_lshrrev_b32_e32 v58, 2, v7
	v_mul_u32_u24_e32 v25, 12, v25
	v_mul_lo_u32 v58, v58, 12
	v_or_b32_e32 v25, v25, v75
	v_lshl_add_u32 v25, v25, 2, 0
	v_pack_b32_f16 v57, v59, v69
	v_pack_b32_f16 v28, v70, v28
	ds_write2_b32 v25, v57, v28 offset1:4
	v_pack_b32_f16 v26, v54, v26
	v_pack_b32_f16 v28, v65, v29
	v_lshrrev_b32_e32 v29, 2, v21
	ds_write_b32 v25, v26 offset:32
	v_or_b32_e32 v25, v58, v74
	v_mul_lo_u32 v29, v29, 12
	v_lshl_add_u32 v25, v25, 2, 0
	v_pack_b32_f16 v26, v55, v64
	ds_write2_b32 v25, v26, v28 offset1:4
	v_lshrrev_b32_e32 v28, 2, v10
	v_pack_b32_f16 v26, v53, v27
	v_mul_lo_u32 v28, v28, 12
	ds_write_b32 v25, v26 offset:32
	v_or_b32_e32 v25, v29, v72
	v_lshl_add_u32 v25, v25, 2, 0
	v_pack_b32_f16 v26, v56, v71
	v_pack_b32_f16 v27, v63, v32
	ds_write2_b32 v25, v26, v27 offset1:4
	v_pack_b32_f16 v26, v62, v30
	ds_write_b32 v25, v26 offset:32
	v_or_b32_e32 v25, v28, v73
	v_lshrrev_b32_e32 v28, 2, v12
	v_lshl_add_u32 v25, v25, 2, 0
	v_pack_b32_f16 v26, v77, v84
	v_pack_b32_f16 v27, v82, v33
	v_mul_lo_u32 v28, v28, 12
	ds_write2_b32 v25, v26, v27 offset1:4
	v_lshrrev_b32_e32 v27, 2, v14
	v_mul_lo_u32 v27, v27, 12
	v_pack_b32_f16 v26, v83, v31
	ds_write_b32 v25, v26 offset:32
	v_or_b32_e32 v25, v28, v75
	v_lshl_add_u32 v25, v25, 2, 0
	v_pack_b32_f16 v22, v46, v22
	v_pack_b32_f16 v26, v60, v78
	;; [unrolled: 1-line block ×3, first 2 shown]
	ds_write_b32 v25, v22 offset:32
	v_or_b32_e32 v22, v27, v76
	ds_write2_b32 v25, v26, v24 offset1:4
	v_lshl_add_u32 v22, v22, 2, 0
	v_pack_b32_f16 v24, v79, v85
	v_pack_b32_f16 v25, v80, v66
	;; [unrolled: 1-line block ×3, first 2 shown]
	ds_write2_b32 v22, v24, v25 offset1:4
	ds_write_b32 v22, v23 offset:32
	s_and_saveexec_b64 s[2:3], vcc
	s_cbranch_execz .LBB0_17
; %bb.16:
	v_lshrrev_b32_e32 v22, 2, v16
	v_mul_lo_u32 v22, v22, 12
	s_mov_b32 s6, 0x5040100
	v_perm_b32 v23, v39, v38, s6
	v_perm_b32 v24, v51, v49, s6
	v_or_b32_e32 v22, v22, v52
	v_lshl_add_u32 v22, v22, 2, 0
	ds_write2_b32 v22, v23, v24 offset1:4
	v_perm_b32 v23, v40, v50, s6
	ds_write_b32 v22, v23 offset:32
.LBB0_17:
	s_or_b64 exec, exec, s[2:3]
	v_add_u32_e32 v22, 0x400, v11
	s_waitcnt lgkmcnt(0)
	; wave barrier
	s_waitcnt lgkmcnt(0)
	ds_read2_b32 v[26:27], v22 offset0:164 offset1:227
	v_add_u32_e32 v22, 0xc00, v11
	ds_read2_b32 v[30:31], v22 offset0:72 offset1:135
	v_add_u32_e32 v22, 0x800, v11
	v_add_u32_e32 v23, 0xe00, v11
	;; [unrolled: 1-line block ×6, first 2 shown]
	ds_read2_b32 v[28:29], v22 offset0:34 offset1:97
	ds_read2_b32 v[32:33], v23 offset0:70 offset1:133
	v_add_u32_e32 v45, v34, v44
	ds_read2_b32 v[22:23], v22 offset0:160 offset1:223
	ds_read2_b32 v[24:25], v19 offset0:68 offset1:131
	v_add_u32_e32 v44, v17, v41
	ds_read_b32 v54, v11
	ds_read_b32 v41, v48
	;; [unrolled: 1-line block ×6, first 2 shown]
	s_and_saveexec_b64 s[2:3], vcc
	s_cbranch_execz .LBB0_19
; %bb.18:
	ds_read_b32 v38, v43
	ds_read_b32 v49, v11 offset:3192
	ds_read_b32 v50, v11 offset:4872
	s_waitcnt lgkmcnt(2)
	v_lshrrev_b32_e32 v39, 16, v38
	s_waitcnt lgkmcnt(1)
	v_lshrrev_b32_e32 v51, 16, v49
	;; [unrolled: 2-line block ×3, first 2 shown]
.LBB0_19:
	s_or_b64 exec, exec, s[2:3]
	s_movk_i32 s2, 0xab
	v_mul_lo_u16_sdwa v19, v3, s2 dst_sel:DWORD dst_unused:UNUSED_PAD src0_sel:BYTE_0 src1_sel:DWORD
	v_lshrrev_b16_e32 v69, 11, v19
	v_mul_lo_u16_sdwa v53, v7, s2 dst_sel:DWORD dst_unused:UNUSED_PAD src0_sel:BYTE_0 src1_sel:DWORD
	v_mul_lo_u16_e32 v19, 12, v69
	v_lshrrev_b16_e32 v71, 11, v53
	v_sub_u16_e32 v70, v3, v19
	v_mov_b32_e32 v19, 3
	v_mul_lo_u16_e32 v53, 12, v71
	v_lshlrev_b32_sdwa v52, v19, v70 dst_sel:DWORD dst_unused:UNUSED_PAD src0_sel:DWORD src1_sel:BYTE_0
	v_sub_u16_e32 v72, v7, v53
	v_mul_lo_u16_sdwa v53, v21, s2 dst_sel:DWORD dst_unused:UNUSED_PAD src0_sel:BYTE_0 src1_sel:DWORD
	global_load_dwordx2 v[55:56], v52, s[12:13] offset:40
	v_lshlrev_b32_sdwa v52, v19, v72 dst_sel:DWORD dst_unused:UNUSED_PAD src0_sel:DWORD src1_sel:BYTE_0
	v_lshrrev_b16_e32 v73, 11, v53
	global_load_dwordx2 v[57:58], v52, s[12:13] offset:40
	v_mul_lo_u16_e32 v52, 12, v73
	v_sub_u16_e32 v74, v21, v52
	v_lshlrev_b32_sdwa v52, v19, v74 dst_sel:DWORD dst_unused:UNUSED_PAD src0_sel:DWORD src1_sel:BYTE_0
	global_load_dwordx2 v[59:60], v52, s[12:13] offset:40
	v_mul_lo_u16_sdwa v52, v10, s2 dst_sel:DWORD dst_unused:UNUSED_PAD src0_sel:BYTE_0 src1_sel:DWORD
	v_lshrrev_b16_e32 v75, 11, v52
	v_mul_lo_u16_e32 v52, 12, v75
	v_sub_u16_e32 v76, v10, v52
	v_lshlrev_b32_sdwa v19, v19, v76 dst_sel:DWORD dst_unused:UNUSED_PAD src0_sel:DWORD src1_sel:BYTE_0
	s_mov_b32 s2, 0xaaab
	global_load_dwordx2 v[61:62], v19, s[12:13] offset:40
	v_mul_u32_u24_sdwa v19, v12, s2 dst_sel:DWORD dst_unused:UNUSED_PAD src0_sel:WORD_0 src1_sel:DWORD
	v_lshrrev_b32_e32 v77, 19, v19
	v_mul_lo_u16_e32 v19, 12, v77
	v_sub_u16_e32 v78, v12, v19
	v_lshlrev_b32_e32 v19, 3, v78
	global_load_dwordx2 v[63:64], v19, s[12:13] offset:40
	v_mul_u32_u24_sdwa v19, v14, s2 dst_sel:DWORD dst_unused:UNUSED_PAD src0_sel:WORD_0 src1_sel:DWORD
	v_lshrrev_b32_e32 v79, 19, v19
	v_mul_lo_u16_e32 v19, 12, v79
	v_sub_u16_e32 v80, v14, v19
	v_lshlrev_b32_e32 v19, 3, v80
	;; [unrolled: 6-line block ×3, first 2 shown]
	global_load_dwordx2 v[67:68], v19, s[12:13] offset:40
	s_waitcnt lgkmcnt(11)
	v_lshrrev_b32_e32 v91, 16, v26
	s_waitcnt lgkmcnt(10)
	v_lshrrev_b32_e32 v92, 16, v30
	;; [unrolled: 2-line block ×6, first 2 shown]
	v_lshrrev_b32_e32 v89, 16, v23
	v_lshrrev_b32_e32 v90, 16, v25
	;; [unrolled: 1-line block ×3, first 2 shown]
	v_sub_u32_e32 v19, 0, v37
	s_waitcnt lgkmcnt(5)
	v_lshrrev_b32_e32 v37, 16, v54
	v_lshrrev_b32_e32 v94, 16, v31
	s_movk_i32 s2, 0x3aee
	s_mov_b32 s3, 0xbaee
	s_waitcnt lgkmcnt(4)
	v_lshrrev_b32_e32 v81, 16, v41
	v_lshrrev_b32_e32 v95, 16, v28
	;; [unrolled: 1-line block ×3, first 2 shown]
	s_waitcnt lgkmcnt(3)
	v_lshrrev_b32_e32 v82, 16, v36
	s_waitcnt lgkmcnt(2)
	v_lshrrev_b32_e32 v83, 16, v35
	;; [unrolled: 2-line block ×4, first 2 shown]
	v_mul_u32_u24_e32 v69, 0x90, v69
	s_waitcnt lgkmcnt(0)
	; wave barrier
	s_waitcnt vmcnt(6)
	v_mul_f16_sdwa v98, v55, v91 dst_sel:DWORD dst_unused:UNUSED_PAD src0_sel:WORD_1 src1_sel:DWORD
	v_mul_f16_sdwa v99, v55, v26 dst_sel:DWORD dst_unused:UNUSED_PAD src0_sel:WORD_1 src1_sel:DWORD
	;; [unrolled: 1-line block ×4, first 2 shown]
	v_fma_f16 v98, v55, v26, -v98
	v_fma_f16 v30, v56, v30, -v100
	v_fma_f16 v56, v56, v92, v101
	s_waitcnt vmcnt(5)
	v_mul_f16_sdwa v102, v57, v93 dst_sel:DWORD dst_unused:UNUSED_PAD src0_sel:WORD_1 src1_sel:DWORD
	v_mul_f16_sdwa v103, v57, v27 dst_sel:DWORD dst_unused:UNUSED_PAD src0_sel:WORD_1 src1_sel:DWORD
	v_fma_f16 v55, v55, v91, v99
	v_fma_f16 v91, v57, v27, -v102
	v_mul_f16_sdwa v104, v58, v94 dst_sel:DWORD dst_unused:UNUSED_PAD src0_sel:WORD_1 src1_sel:DWORD
	v_mul_f16_sdwa v105, v58, v31 dst_sel:DWORD dst_unused:UNUSED_PAD src0_sel:WORD_1 src1_sel:DWORD
	v_fma_f16 v31, v58, v31, -v104
	s_waitcnt vmcnt(3)
	v_mul_f16_sdwa v26, v61, v97 dst_sel:DWORD dst_unused:UNUSED_PAD src0_sel:WORD_1 src1_sel:DWORD
	v_fma_f16 v92, v61, v29, -v26
	v_mul_f16_sdwa v26, v61, v29 dst_sel:DWORD dst_unused:UNUSED_PAD src0_sel:WORD_1 src1_sel:DWORD
	v_fma_f16 v29, v61, v97, v26
	v_mul_f16_sdwa v26, v84, v62 dst_sel:DWORD dst_unused:UNUSED_PAD src0_sel:DWORD src1_sel:WORD_1
	v_fma_f16 v61, v33, v62, -v26
	v_mul_f16_sdwa v26, v33, v62 dst_sel:DWORD dst_unused:UNUSED_PAD src0_sel:DWORD src1_sel:WORD_1
	v_fma_f16 v33, v84, v62, v26
	s_waitcnt vmcnt(2)
	v_mul_f16_sdwa v26, v86, v63 dst_sel:DWORD dst_unused:UNUSED_PAD src0_sel:DWORD src1_sel:WORD_1
	v_fma_f16 v62, v22, v63, -v26
	v_mul_f16_sdwa v22, v22, v63 dst_sel:DWORD dst_unused:UNUSED_PAD src0_sel:DWORD src1_sel:WORD_1
	v_mul_f16_sdwa v26, v87, v64 dst_sel:DWORD dst_unused:UNUSED_PAD src0_sel:DWORD src1_sel:WORD_1
	v_fma_f16 v22, v86, v63, v22
	v_fma_f16 v63, v24, v64, -v26
	v_mul_f16_sdwa v24, v24, v64 dst_sel:DWORD dst_unused:UNUSED_PAD src0_sel:DWORD src1_sel:WORD_1
	v_fma_f16 v64, v87, v64, v24
	s_waitcnt vmcnt(1)
	v_mul_f16_sdwa v24, v89, v65 dst_sel:DWORD dst_unused:UNUSED_PAD src0_sel:DWORD src1_sel:WORD_1
	v_fma_f16 v84, v23, v65, -v24
	v_mul_f16_sdwa v23, v23, v65 dst_sel:DWORD dst_unused:UNUSED_PAD src0_sel:DWORD src1_sel:WORD_1
	v_mul_f16_sdwa v24, v90, v66 dst_sel:DWORD dst_unused:UNUSED_PAD src0_sel:DWORD src1_sel:WORD_1
	v_fma_f16 v23, v89, v65, v23
	v_fma_f16 v65, v25, v66, -v24
	v_mul_f16_sdwa v24, v25, v66 dst_sel:DWORD dst_unused:UNUSED_PAD src0_sel:DWORD src1_sel:WORD_1
	v_fma_f16 v66, v90, v66, v24
	s_waitcnt vmcnt(0)
	v_mul_f16_sdwa v24, v51, v67 dst_sel:DWORD dst_unused:UNUSED_PAD src0_sel:DWORD src1_sel:WORD_1
	v_mul_f16_sdwa v25, v49, v67 dst_sel:DWORD dst_unused:UNUSED_PAD src0_sel:DWORD src1_sel:WORD_1
	v_fma_f16 v24, v49, v67, -v24
	v_fma_f16 v26, v51, v67, v25
	v_mul_f16_sdwa v25, v40, v68 dst_sel:DWORD dst_unused:UNUSED_PAD src0_sel:DWORD src1_sel:WORD_1
	v_mul_f16_sdwa v27, v50, v68 dst_sel:DWORD dst_unused:UNUSED_PAD src0_sel:DWORD src1_sel:WORD_1
	v_add_f16_e32 v49, v98, v30
	v_fma_f16 v25, v50, v68, -v25
	v_fma_f16 v27, v40, v68, v27
	v_add_f16_e32 v40, v54, v98
	v_fma_f16 v49, v49, -0.5, v54
	v_sub_f16_e32 v50, v55, v56
	v_add_f16_e32 v54, v55, v56
	v_add_f16_e32 v40, v40, v30
	v_fma_f16 v51, v50, s2, v49
	v_fma_f16 v49, v50, s3, v49
	v_add_f16_e32 v50, v37, v55
	v_fma_f16 v37, v54, -0.5, v37
	v_sub_f16_e32 v30, v98, v30
	v_fma_f16 v54, v30, s3, v37
	v_fma_f16 v37, v30, s2, v37
	v_add_f16_e32 v30, v41, v91
	v_fma_f16 v57, v57, v93, v103
	v_fma_f16 v58, v58, v94, v105
	v_add_f16_e32 v55, v30, v31
	v_add_f16_e32 v30, v91, v31
	v_fma_f16 v30, v30, -0.5, v41
	v_sub_f16_e32 v41, v57, v58
	v_add_f16_e32 v50, v50, v56
	v_fma_f16 v56, v41, s2, v30
	v_fma_f16 v41, v41, s3, v30
	v_add_f16_e32 v30, v81, v57
	v_mul_f16_sdwa v106, v59, v95 dst_sel:DWORD dst_unused:UNUSED_PAD src0_sel:WORD_1 src1_sel:DWORD
	v_add_f16_e32 v67, v30, v58
	v_add_f16_e32 v30, v57, v58
	v_mul_f16_sdwa v107, v59, v28 dst_sel:DWORD dst_unused:UNUSED_PAD src0_sel:WORD_1 src1_sel:DWORD
	v_mul_f16_sdwa v108, v60, v96 dst_sel:DWORD dst_unused:UNUSED_PAD src0_sel:WORD_1 src1_sel:DWORD
	v_fma_f16 v28, v59, v28, -v106
	v_fma_f16 v30, v30, -0.5, v81
	v_sub_f16_e32 v31, v91, v31
	v_mul_f16_sdwa v109, v60, v32 dst_sel:DWORD dst_unused:UNUSED_PAD src0_sel:WORD_1 src1_sel:DWORD
	v_fma_f16 v32, v60, v32, -v108
	v_fma_f16 v57, v31, s3, v30
	v_fma_f16 v58, v31, s2, v30
	v_add_f16_e32 v30, v36, v28
	v_fma_f16 v59, v59, v95, v107
	v_fma_f16 v60, v60, v96, v109
	v_add_f16_e32 v68, v30, v32
	v_add_f16_e32 v30, v28, v32
	v_fma_f16 v30, v30, -0.5, v36
	v_sub_f16_e32 v31, v59, v60
	v_fma_f16 v36, v31, s2, v30
	v_fma_f16 v81, v31, s3, v30
	v_add_f16_e32 v30, v82, v59
	v_add_f16_e32 v86, v30, v60
	v_add_f16_e32 v30, v59, v60
	v_fma_f16 v30, v30, -0.5, v82
	v_sub_f16_e32 v28, v28, v32
	v_fma_f16 v32, v28, s3, v30
	v_fma_f16 v59, v28, s2, v30
	v_add_f16_e32 v28, v35, v92
	;; [unrolled: 7-line block ×7, first 2 shown]
	v_add_f16_e32 v92, v17, v66
	v_add_f16_e32 v17, v23, v66
	v_fma_f16 v17, v17, -0.5, v88
	v_sub_f16_e32 v22, v84, v65
	v_fma_f16 v65, v22, s3, v17
	v_fma_f16 v66, v22, s2, v17
	v_mov_b32_e32 v22, 2
	v_lshlrev_b32_sdwa v70, v22, v70 dst_sel:DWORD dst_unused:UNUSED_PAD src0_sel:DWORD src1_sel:BYTE_0
	v_add3_u32 v69, 0, v69, v70
	v_pack_b32_f16 v40, v40, v50
	v_pack_b32_f16 v50, v51, v54
	;; [unrolled: 1-line block ×3, first 2 shown]
	ds_write2_b32 v69, v40, v50 offset1:12
	ds_write_b32 v69, v37 offset:96
	v_mul_u32_u24_e32 v37, 0x90, v71
	v_lshlrev_b32_sdwa v40, v22, v72 dst_sel:DWORD dst_unused:UNUSED_PAD src0_sel:DWORD src1_sel:BYTE_0
	v_add3_u32 v37, 0, v37, v40
	v_pack_b32_f16 v40, v55, v67
	v_pack_b32_f16 v49, v56, v57
	ds_write2_b32 v37, v40, v49 offset1:12
	v_pack_b32_f16 v40, v41, v58
	ds_write_b32 v37, v40 offset:96
	v_mul_u32_u24_e32 v37, 0x90, v73
	v_lshlrev_b32_sdwa v40, v22, v74 dst_sel:DWORD dst_unused:UNUSED_PAD src0_sel:DWORD src1_sel:BYTE_0
	v_add3_u32 v37, 0, v37, v40
	v_pack_b32_f16 v40, v68, v86
	v_pack_b32_f16 v32, v36, v32
	ds_write2_b32 v37, v40, v32 offset1:12
	v_pack_b32_f16 v32, v81, v59
	;; [unrolled: 8-line block ×3, first 2 shown]
	ds_write_b32 v32, v33 offset:96
	v_mul_u32_u24_e32 v32, 0x90, v77
	v_lshlrev_b32_e32 v33, 2, v78
	v_add3_u32 v32, 0, v32, v33
	v_pack_b32_f16 v33, v83, v90
	v_pack_b32_f16 v34, v34, v62
	v_add_f16_e32 v17, v24, v25
	ds_write2_b32 v32, v33, v34 offset1:12
	v_pack_b32_f16 v33, v89, v63
	v_fma_f16 v28, v17, -0.5, v38
	v_add_f16_e32 v17, v26, v27
	ds_write_b32 v32, v33 offset:96
	v_mul_u32_u24_e32 v32, 0x90, v79
	v_lshlrev_b32_e32 v33, 2, v80
	v_sub_f16_e32 v29, v26, v27
	v_fma_f16 v30, v17, -0.5, v39
	v_sub_f16_e32 v31, v24, v25
	v_add3_u32 v32, 0, v32, v33
	v_pack_b32_f16 v33, v64, v92
	v_pack_b32_f16 v34, v85, v65
	v_fma_f16 v23, v29, s3, v28
	v_fma_f16 v17, v31, s2, v30
	ds_write2_b32 v32, v33, v34 offset1:12
	v_pack_b32_f16 v33, v91, v66
	ds_write_b32 v32, v33 offset:96
	s_and_saveexec_b64 s[2:3], vcc
	s_cbranch_execz .LBB0_21
; %bb.20:
	v_add_f16_e32 v24, v38, v24
	v_mul_f16_e32 v29, 0x3aee, v29
	v_mul_f16_e32 v31, 0x3aee, v31
	v_add_f16_e32 v26, v39, v26
	v_add_f16_e32 v24, v24, v25
	v_mul_lo_u16_e32 v25, 36, v52
	v_sub_f16_e32 v30, v30, v31
	v_add_f16_e32 v28, v29, v28
	v_add_f16_e32 v26, v26, v27
	v_lshlrev_b32_e32 v27, 2, v53
	v_lshlrev_b32_e32 v25, 2, v25
	v_add3_u32 v25, 0, v27, v25
	v_pack_b32_f16 v24, v24, v26
	v_pack_b32_f16 v26, v28, v30
	s_mov_b32 s6, 0x5040100
	ds_write2_b32 v25, v24, v26 offset1:12
	v_perm_b32 v24, v17, v23, s6
	ds_write_b32 v25, v24 offset:96
.LBB0_21:
	s_or_b64 exec, exec, s[2:3]
	v_subrev_u32_e32 v24, 36, v3
	v_cmp_gt_u32_e32 vcc, 36, v3
	v_cndmask_b32_e32 v24, v24, v3, vcc
	v_lshlrev_b32_e32 v24, 2, v24
	v_mov_b32_e32 v25, 0
	v_lshlrev_b64 v[26:27], 2, v[24:25]
	v_mov_b32_e32 v38, 57
	v_mul_lo_u16_sdwa v30, v7, v38 dst_sel:DWORD dst_unused:UNUSED_PAD src0_sel:BYTE_0 src1_sel:DWORD
	v_mov_b32_e32 v28, s13
	v_add_co_u32_e32 v26, vcc, s12, v26
	v_lshrrev_b16_e32 v68, 11, v30
	v_addc_co_u32_e32 v27, vcc, v28, v27, vcc
	v_mul_lo_u16_e32 v30, 36, v68
	s_waitcnt lgkmcnt(0)
	; wave barrier
	s_waitcnt lgkmcnt(0)
	global_load_dwordx4 v[26:29], v[26:27], off offset:136
	v_mov_b32_e32 v39, 4
	v_sub_u16_e32 v54, v7, v30
	v_lshlrev_b32_sdwa v30, v39, v54 dst_sel:DWORD dst_unused:UNUSED_PAD src0_sel:DWORD src1_sel:BYTE_0
	global_load_dwordx4 v[30:33], v30, s[12:13] offset:136
	v_add_u32_e32 v49, v15, v19
	v_mul_lo_u16_sdwa v15, v21, v38 dst_sel:DWORD dst_unused:UNUSED_PAD src0_sel:BYTE_0 src1_sel:DWORD
	v_lshrrev_b16_e32 v69, 11, v15
	v_mul_lo_u16_e32 v15, 36, v69
	v_sub_u16_e32 v15, v21, v15
	v_lshlrev_b32_sdwa v19, v39, v15 dst_sel:DWORD dst_unused:UNUSED_PAD src0_sel:DWORD src1_sel:BYTE_0
	global_load_dwordx4 v[34:37], v19, s[12:13] offset:136
	v_mul_lo_u16_sdwa v38, v10, v38 dst_sel:DWORD dst_unused:UNUSED_PAD src0_sel:BYTE_0 src1_sel:DWORD
	v_lshrrev_b16_e32 v77, 11, v38
	v_mul_lo_u16_e32 v38, 36, v77
	v_sub_u16_e32 v78, v10, v38
	v_lshlrev_b32_sdwa v38, v39, v78 dst_sel:DWORD dst_unused:UNUSED_PAD src0_sel:DWORD src1_sel:BYTE_0
	v_add_u32_e32 v55, 0xa00, v11
	ds_read_b32 v19, v11
	ds_read_b32 v72, v48
	;; [unrolled: 1-line block ×4, first 2 shown]
	ds_read2_b32 v[50:51], v55 offset0:116 offset1:179
	global_load_dwordx4 v[38:41], v38, s[12:13] offset:136
	v_add_u32_e32 v70, 0xe00, v11
	v_add_u32_e32 v57, 0x400, v11
	;; [unrolled: 1-line block ×6, first 2 shown]
	ds_read2_b32 v[52:53], v70 offset0:112 offset1:175
	ds_read2_b32 v[58:59], v57 offset0:59 offset1:122
	;; [unrolled: 1-line block ×6, first 2 shown]
	ds_read_b32 v79, v45
	ds_read_b32 v80, v46
	s_waitcnt lgkmcnt(7)
	v_lshrrev_b32_e32 v100, 16, v52
	v_lshrrev_b32_e32 v98, 16, v76
	s_waitcnt lgkmcnt(6)
	v_lshrrev_b32_e32 v85, 16, v58
	s_waitcnt lgkmcnt(1)
	v_lshrrev_b32_e32 v84, 16, v79
	v_lshrrev_b32_e32 v86, 16, v61
	v_lshrrev_b32_e32 v87, 16, v51
	v_lshrrev_b32_e32 v88, 16, v53
	v_lshrrev_b32_e32 v89, 16, v59
	v_lshrrev_b32_e32 v90, 16, v62
	v_lshrrev_b32_e32 v91, 16, v64
	v_lshrrev_b32_e32 v92, 16, v66
	v_lshrrev_b32_e32 v94, 16, v60
	v_lshrrev_b32_e32 v95, 16, v63
	v_lshrrev_b32_e32 v96, 16, v65
	v_lshrrev_b32_e32 v97, 16, v67
	v_lshrrev_b32_e32 v99, 16, v50
	s_movk_i32 s3, 0x3b9c
	s_mov_b32 s7, 0xbb9c
	s_movk_i32 s2, 0x38b4
	s_mov_b32 s8, 0xb8b4
	s_movk_i32 s6, 0x34f2
	v_lshrrev_b32_e32 v81, 16, v19
	v_lshrrev_b32_e32 v82, 16, v72
	v_lshrrev_b32_e32 v83, 16, v73
	s_waitcnt lgkmcnt(0)
	v_lshrrev_b32_e32 v93, 16, v80
	v_cmp_lt_u32_e32 vcc, 35, v3
	s_waitcnt lgkmcnt(0)
	; wave barrier
	s_waitcnt vmcnt(3)
	v_mul_f16_sdwa v101, v26, v84 dst_sel:DWORD dst_unused:UNUSED_PAD src0_sel:WORD_1 src1_sel:DWORD
	v_mul_f16_sdwa v102, v26, v79 dst_sel:DWORD dst_unused:UNUSED_PAD src0_sel:WORD_1 src1_sel:DWORD
	;; [unrolled: 1-line block ×5, first 2 shown]
	v_fma_f16 v79, v26, v79, -v101
	v_fma_f16 v26, v26, v84, v102
	v_fma_f16 v84, v29, v52, -v107
	v_mul_f16_sdwa v52, v29, v52 dst_sel:DWORD dst_unused:UNUSED_PAD src0_sel:WORD_1 src1_sel:DWORD
	v_fma_f16 v76, v27, v76, -v103
	v_fma_f16 v27, v27, v98, v104
	v_fma_f16 v29, v29, v100, v52
	v_lshlrev_b32_sdwa v98, v22, v54 dst_sel:DWORD dst_unused:UNUSED_PAD src0_sel:DWORD src1_sel:BYTE_0
	s_waitcnt vmcnt(2)
	v_mul_f16_sdwa v52, v85, v30 dst_sel:DWORD dst_unused:UNUSED_PAD src0_sel:DWORD src1_sel:WORD_1
	v_mul_f16_sdwa v54, v58, v30 dst_sel:DWORD dst_unused:UNUSED_PAD src0_sel:DWORD src1_sel:WORD_1
	v_fma_f16 v52, v58, v30, -v52
	v_fma_f16 v30, v85, v30, v54
	v_mul_f16_sdwa v54, v86, v31 dst_sel:DWORD dst_unused:UNUSED_PAD src0_sel:DWORD src1_sel:WORD_1
	v_mul_f16_sdwa v58, v61, v31 dst_sel:DWORD dst_unused:UNUSED_PAD src0_sel:DWORD src1_sel:WORD_1
	v_fma_f16 v54, v61, v31, -v54
	v_fma_f16 v31, v86, v31, v58
	v_mul_f16_sdwa v58, v87, v32 dst_sel:DWORD dst_unused:UNUSED_PAD src0_sel:DWORD src1_sel:WORD_1
	v_fma_f16 v58, v51, v32, -v58
	v_mul_f16_sdwa v51, v51, v32 dst_sel:DWORD dst_unused:UNUSED_PAD src0_sel:DWORD src1_sel:WORD_1
	v_fma_f16 v32, v87, v32, v51
	v_mul_f16_sdwa v51, v88, v33 dst_sel:DWORD dst_unused:UNUSED_PAD src0_sel:DWORD src1_sel:WORD_1
	v_fma_f16 v51, v53, v33, -v51
	v_mul_f16_sdwa v53, v53, v33 dst_sel:DWORD dst_unused:UNUSED_PAD src0_sel:DWORD src1_sel:WORD_1
	v_lshlrev_b32_sdwa v61, v22, v15 dst_sel:DWORD dst_unused:UNUSED_PAD src0_sel:DWORD src1_sel:BYTE_0
	s_waitcnt vmcnt(1)
	v_mul_f16_sdwa v15, v89, v34 dst_sel:DWORD dst_unused:UNUSED_PAD src0_sel:DWORD src1_sel:WORD_1
	v_fma_f16 v33, v88, v33, v53
	v_fma_f16 v53, v59, v34, -v15
	v_mul_f16_sdwa v15, v59, v34 dst_sel:DWORD dst_unused:UNUSED_PAD src0_sel:DWORD src1_sel:WORD_1
	v_fma_f16 v34, v89, v34, v15
	v_mul_f16_sdwa v15, v90, v35 dst_sel:DWORD dst_unused:UNUSED_PAD src0_sel:DWORD src1_sel:WORD_1
	v_fma_f16 v59, v62, v35, -v15
	v_mul_f16_sdwa v15, v62, v35 dst_sel:DWORD dst_unused:UNUSED_PAD src0_sel:DWORD src1_sel:WORD_1
	v_fma_f16 v35, v90, v35, v15
	v_mul_f16_sdwa v15, v91, v36 dst_sel:DWORD dst_unused:UNUSED_PAD src0_sel:DWORD src1_sel:WORD_1
	;; [unrolled: 4-line block ×3, first 2 shown]
	v_fma_f16 v64, v66, v37, -v15
	v_mul_f16_sdwa v15, v66, v37 dst_sel:DWORD dst_unused:UNUSED_PAD src0_sel:DWORD src1_sel:WORD_1
	v_fma_f16 v37, v92, v37, v15
	s_waitcnt vmcnt(0)
	v_mul_f16_sdwa v15, v94, v38 dst_sel:DWORD dst_unused:UNUSED_PAD src0_sel:DWORD src1_sel:WORD_1
	v_lshlrev_b32_sdwa v66, v22, v78 dst_sel:DWORD dst_unused:UNUSED_PAD src0_sel:DWORD src1_sel:BYTE_0
	v_fma_f16 v78, v60, v38, -v15
	v_mul_f16_sdwa v15, v60, v38 dst_sel:DWORD dst_unused:UNUSED_PAD src0_sel:DWORD src1_sel:WORD_1
	v_fma_f16 v38, v94, v38, v15
	v_mul_f16_sdwa v15, v95, v39 dst_sel:DWORD dst_unused:UNUSED_PAD src0_sel:DWORD src1_sel:WORD_1
	v_fma_f16 v60, v63, v39, -v15
	v_mul_f16_sdwa v15, v63, v39 dst_sel:DWORD dst_unused:UNUSED_PAD src0_sel:DWORD src1_sel:WORD_1
	v_fma_f16 v39, v95, v39, v15
	v_mul_f16_sdwa v15, v96, v40 dst_sel:DWORD dst_unused:UNUSED_PAD src0_sel:DWORD src1_sel:WORD_1
	;; [unrolled: 4-line block ×3, first 2 shown]
	v_fma_f16 v65, v67, v41, -v15
	v_mul_f16_sdwa v15, v67, v41 dst_sel:DWORD dst_unused:UNUSED_PAD src0_sel:DWORD src1_sel:WORD_1
	v_mul_f16_sdwa v105, v28, v99 dst_sel:DWORD dst_unused:UNUSED_PAD src0_sel:WORD_1 src1_sel:DWORD
	v_fma_f16 v41, v97, v41, v15
	v_add_f16_e32 v15, v19, v79
	v_mul_f16_sdwa v106, v28, v50 dst_sel:DWORD dst_unused:UNUSED_PAD src0_sel:WORD_1 src1_sel:DWORD
	v_fma_f16 v50, v28, v50, -v105
	v_add_f16_e32 v15, v15, v76
	v_add_f16_e32 v15, v15, v50
	;; [unrolled: 1-line block ×4, first 2 shown]
	v_fma_f16 v28, v28, v99, v106
	v_fma_f16 v15, v15, -0.5, v19
	v_sub_f16_e32 v22, v26, v29
	v_fma_f16 v85, v22, s3, v15
	v_sub_f16_e32 v86, v27, v28
	v_sub_f16_e32 v87, v79, v76
	;; [unrolled: 1-line block ×3, first 2 shown]
	v_fma_f16 v15, v22, s7, v15
	v_fma_f16 v85, v86, s2, v85
	v_add_f16_e32 v87, v87, v88
	v_fma_f16 v15, v86, s8, v15
	v_fma_f16 v85, v87, s6, v85
	;; [unrolled: 1-line block ×3, first 2 shown]
	v_add_f16_e32 v15, v79, v84
	v_fma_f16 v15, v15, -0.5, v19
	v_fma_f16 v19, v86, s7, v15
	v_sub_f16_e32 v88, v76, v79
	v_sub_f16_e32 v89, v50, v84
	v_fma_f16 v15, v86, s3, v15
	v_add_f16_e32 v88, v88, v89
	v_fma_f16 v15, v22, s8, v15
	v_fma_f16 v86, v88, s6, v15
	v_add_f16_e32 v15, v81, v26
	v_add_f16_e32 v15, v15, v27
	v_fma_f16 v19, v22, s2, v19
	v_add_f16_e32 v15, v15, v28
	v_fma_f16 v89, v88, s6, v19
	v_add_f16_e32 v88, v15, v29
	v_add_f16_e32 v15, v27, v28
	v_fma_f16 v15, v15, -0.5, v81
	v_sub_f16_e32 v19, v79, v84
	v_fma_f16 v22, v19, s7, v15
	v_sub_f16_e32 v50, v76, v50
	v_sub_f16_e32 v76, v26, v27
	;; [unrolled: 1-line block ×3, first 2 shown]
	v_fma_f16 v15, v19, s3, v15
	v_fma_f16 v22, v50, s8, v22
	v_add_f16_e32 v76, v76, v79
	v_fma_f16 v15, v50, s2, v15
	v_fma_f16 v79, v76, s6, v22
	;; [unrolled: 1-line block ×3, first 2 shown]
	v_add_f16_e32 v15, v26, v29
	v_fma_f16 v15, v15, -0.5, v81
	v_fma_f16 v22, v50, s3, v15
	v_sub_f16_e32 v26, v27, v26
	v_sub_f16_e32 v27, v28, v29
	v_fma_f16 v15, v50, s7, v15
	v_add_f16_e32 v26, v26, v27
	v_fma_f16 v15, v19, s2, v15
	v_fma_f16 v84, v26, s6, v15
	v_add_f16_e32 v15, v72, v52
	v_add_f16_e32 v15, v15, v54
	v_add_f16_e32 v15, v15, v58
	v_add_f16_e32 v90, v15, v51
	v_add_f16_e32 v15, v54, v58
	v_fma_f16 v22, v19, s8, v22
	v_fma_f16 v15, v15, -0.5, v72
	v_sub_f16_e32 v19, v30, v33
	v_fma_f16 v81, v26, s6, v22
	v_fma_f16 v22, v19, s3, v15
	v_sub_f16_e32 v26, v31, v32
	v_sub_f16_e32 v27, v52, v54
	v_sub_f16_e32 v28, v51, v58
	v_fma_f16 v15, v19, s7, v15
	v_add_f16_e32 v27, v27, v28
	v_fma_f16 v15, v26, s8, v15
	v_fma_f16 v92, v27, s6, v15
	v_add_f16_e32 v15, v52, v51
	v_fma_f16 v22, v26, s2, v22
	v_fma_f16 v15, v15, -0.5, v72
	v_fma_f16 v91, v27, s6, v22
	v_fma_f16 v22, v26, s7, v15
	v_sub_f16_e32 v27, v54, v52
	v_sub_f16_e32 v28, v58, v51
	v_fma_f16 v15, v26, s3, v15
	v_add_f16_e32 v27, v27, v28
	v_fma_f16 v15, v19, s8, v15
	v_fma_f16 v94, v27, s6, v15
	v_add_f16_e32 v15, v82, v30
	v_add_f16_e32 v15, v15, v31
	v_add_f16_e32 v15, v15, v32
	v_add_f16_e32 v95, v15, v33
	v_add_f16_e32 v15, v31, v32
	v_fma_f16 v22, v19, s2, v22
	v_fma_f16 v15, v15, -0.5, v82
	v_sub_f16_e32 v19, v52, v51
	v_fma_f16 v72, v27, s6, v22
	v_fma_f16 v22, v19, s7, v15
	v_sub_f16_e32 v26, v54, v58
	v_sub_f16_e32 v27, v30, v31
	v_sub_f16_e32 v28, v33, v32
	v_fma_f16 v15, v19, s3, v15
	v_add_f16_e32 v27, v27, v28
	v_fma_f16 v15, v26, s2, v15
	v_fma_f16 v96, v27, s6, v15
	v_add_f16_e32 v15, v30, v33
	v_fma_f16 v22, v26, s8, v22
	v_fma_f16 v15, v15, -0.5, v82
	v_fma_f16 v58, v27, s6, v22
	v_fma_f16 v22, v26, s3, v15
	v_sub_f16_e32 v27, v31, v30
	v_sub_f16_e32 v28, v32, v33
	v_fma_f16 v15, v26, s7, v15
	v_add_f16_e32 v27, v27, v28
	v_fma_f16 v15, v19, s2, v15
	v_fma_f16 v31, v27, s6, v15
	v_add_f16_e32 v15, v73, v53
	v_add_f16_e32 v15, v15, v59
	v_add_f16_e32 v15, v15, v62
	v_add_f16_e32 v32, v15, v64
	v_add_f16_e32 v15, v59, v62
	v_fma_f16 v22, v19, s8, v22
	v_fma_f16 v15, v15, -0.5, v73
	v_sub_f16_e32 v19, v34, v37
	v_fma_f16 v30, v27, s6, v22
	v_fma_f16 v22, v19, s3, v15
	v_sub_f16_e32 v26, v35, v36
	v_sub_f16_e32 v27, v53, v59
	v_sub_f16_e32 v28, v64, v62
	v_fma_f16 v22, v26, s2, v22
	v_add_f16_e32 v27, v27, v28
	v_fma_f16 v33, v27, s6, v22
	v_fma_f16 v15, v19, s7, v15
	v_add_f16_e32 v22, v53, v64
	v_fma_f16 v15, v26, s8, v15
	v_fma_f16 v22, v22, -0.5, v73
	v_fma_f16 v15, v27, s6, v15
	v_fma_f16 v27, v26, s7, v22
	v_sub_f16_e32 v28, v59, v53
	v_sub_f16_e32 v29, v62, v64
	v_fma_f16 v22, v26, s3, v22
	v_fma_f16 v27, v19, s2, v27
	v_add_f16_e32 v28, v28, v29
	v_fma_f16 v19, v19, s8, v22
	v_fma_f16 v82, v28, s6, v19
	v_add_f16_e32 v19, v83, v34
	v_add_f16_e32 v19, v19, v35
	;; [unrolled: 1-line block ×5, first 2 shown]
	v_fma_f16 v19, v19, -0.5, v83
	v_sub_f16_e32 v22, v53, v64
	v_fma_f16 v73, v28, s6, v27
	v_fma_f16 v26, v22, s7, v19
	v_sub_f16_e32 v27, v59, v62
	v_sub_f16_e32 v28, v34, v35
	;; [unrolled: 1-line block ×3, first 2 shown]
	v_fma_f16 v26, v27, s8, v26
	v_add_f16_e32 v28, v28, v29
	v_fma_f16 v59, v28, s6, v26
	v_fma_f16 v19, v22, s3, v19
	v_add_f16_e32 v26, v34, v37
	v_fma_f16 v19, v27, s2, v19
	v_fma_f16 v26, v26, -0.5, v83
	v_fma_f16 v19, v28, s6, v19
	v_fma_f16 v28, v27, s3, v26
	v_sub_f16_e32 v29, v35, v34
	v_sub_f16_e32 v34, v36, v37
	v_fma_f16 v26, v27, s7, v26
	v_fma_f16 v28, v22, s8, v28
	v_add_f16_e32 v29, v29, v34
	v_fma_f16 v22, v22, s2, v26
	v_fma_f16 v35, v29, s6, v22
	v_add_f16_e32 v22, v80, v78
	v_add_f16_e32 v22, v22, v60
	;; [unrolled: 1-line block ×5, first 2 shown]
	v_fma_f16 v34, v29, s6, v28
	v_fma_f16 v22, v22, -0.5, v80
	v_sub_f16_e32 v29, v38, v41
	v_fma_f16 v27, v29, s3, v22
	v_sub_f16_e32 v36, v39, v40
	v_sub_f16_e32 v28, v78, v60
	;; [unrolled: 1-line block ×3, first 2 shown]
	v_fma_f16 v22, v29, s7, v22
	v_fma_f16 v27, v36, s2, v27
	v_add_f16_e32 v28, v28, v37
	v_fma_f16 v22, v36, s8, v22
	v_fma_f16 v27, v28, s6, v27
	;; [unrolled: 1-line block ×3, first 2 shown]
	v_add_f16_e32 v28, v78, v65
	v_fma_f16 v37, v28, -0.5, v80
	v_fma_f16 v28, v36, s7, v37
	v_fma_f16 v36, v36, s3, v37
	;; [unrolled: 1-line block ×4, first 2 shown]
	v_add_f16_e32 v36, v93, v38
	v_sub_f16_e32 v50, v60, v78
	v_sub_f16_e32 v51, v63, v65
	v_add_f16_e32 v36, v36, v39
	v_add_f16_e32 v50, v50, v51
	;; [unrolled: 1-line block ×3, first 2 shown]
	v_fma_f16 v28, v50, s6, v28
	v_fma_f16 v29, v50, s6, v29
	v_add_f16_e32 v50, v36, v41
	v_add_f16_e32 v36, v39, v40
	v_fma_f16 v36, v36, -0.5, v93
	v_sub_f16_e32 v37, v78, v65
	v_fma_f16 v51, v37, s7, v36
	v_sub_f16_e32 v54, v60, v63
	v_sub_f16_e32 v52, v38, v39
	;; [unrolled: 1-line block ×3, first 2 shown]
	v_fma_f16 v36, v37, s3, v36
	v_fma_f16 v51, v54, s8, v51
	v_add_f16_e32 v52, v52, v53
	v_fma_f16 v36, v54, s2, v36
	v_fma_f16 v51, v52, s6, v51
	;; [unrolled: 1-line block ×3, first 2 shown]
	v_add_f16_e32 v36, v38, v41
	v_fma_f16 v36, v36, -0.5, v93
	v_fma_f16 v53, v54, s3, v36
	v_sub_f16_e32 v38, v39, v38
	v_sub_f16_e32 v39, v40, v41
	v_fma_f16 v36, v54, s7, v36
	v_add_f16_e32 v38, v38, v39
	v_fma_f16 v36, v37, s2, v36
	v_fma_f16 v54, v38, s6, v36
	v_mov_b32_e32 v36, 0x2d0
	v_cndmask_b32_e32 v36, 0, v36, vcc
	v_fma_f16 v53, v37, s8, v53
	v_add3_u32 v24, 0, v36, v24
	v_pack_b32_f16 v36, v67, v88
	v_pack_b32_f16 v37, v85, v79
	ds_write2_b32 v24, v36, v37 offset1:36
	v_pack_b32_f16 v36, v89, v81
	v_pack_b32_f16 v37, v86, v84
	ds_write2_b32 v24, v36, v37 offset0:72 offset1:108
	v_pack_b32_f16 v36, v87, v76
	ds_write_b32 v24, v36 offset:576
	v_mul_u32_u24_e32 v24, 0x2d0, v68
	v_add3_u32 v24, 0, v24, v98
	v_pack_b32_f16 v30, v72, v30
	v_pack_b32_f16 v31, v94, v31
	;; [unrolled: 1-line block ×4, first 2 shown]
	ds_write2_b32 v24, v30, v31 offset0:72 offset1:108
	v_pack_b32_f16 v30, v92, v96
	ds_write2_b32 v24, v36, v37 offset1:36
	ds_write_b32 v24, v30 offset:576
	v_mul_u32_u24_e32 v24, 0x2d0, v69
	v_add3_u32 v24, 0, v24, v61
	v_pack_b32_f16 v30, v32, v97
	v_pack_b32_f16 v31, v33, v59
	ds_write2_b32 v24, v30, v31 offset1:36
	v_pack_b32_f16 v30, v73, v34
	v_pack_b32_f16 v31, v82, v35
	ds_write2_b32 v24, v30, v31 offset0:72 offset1:108
	v_pack_b32_f16 v30, v15, v19
	ds_write_b32 v24, v30 offset:576
	v_mul_u32_u24_e32 v24, 0x2d0, v77
	v_fma_f16 v53, v38, s6, v53
	v_add3_u32 v24, 0, v24, v66
	v_pack_b32_f16 v30, v26, v50
	v_pack_b32_f16 v31, v27, v51
	ds_write2_b32 v24, v30, v31 offset1:36
	v_pack_b32_f16 v30, v28, v53
	v_pack_b32_f16 v31, v29, v54
	ds_write2_b32 v24, v30, v31 offset0:72 offset1:108
	v_pack_b32_f16 v30, v22, v52
	ds_write_b32 v24, v30 offset:576
	v_add_u32_e32 v24, 0x200, v11
	s_waitcnt lgkmcnt(0)
	; wave barrier
	s_waitcnt lgkmcnt(0)
	ds_read2_b32 v[30:31], v11 offset1:180
	ds_read2_b32 v[32:33], v24 offset0:115 offset1:232
	ds_read2_b32 v[34:35], v71 offset0:39 offset1:156
	;; [unrolled: 1-line block ×5, first 2 shown]
	ds_read_b32 v58, v48
	ds_read_b32 v59, v11 offset:4572
	v_cmp_gt_u32_e32 vcc, 54, v3
	s_and_saveexec_b64 s[2:3], vcc
	s_cbranch_execz .LBB0_23
; %bb.22:
	ds_read_b32 v15, v47
	ds_read2_b32 v[26:27], v57 offset0:50 offset1:230
	ds_read2_b32 v[28:29], v55 offset0:26 offset1:206
	;; [unrolled: 1-line block ×3, first 2 shown]
	s_waitcnt lgkmcnt(3)
	v_lshrrev_b32_e32 v19, 16, v15
	s_waitcnt lgkmcnt(2)
	v_lshrrev_b32_e32 v50, 16, v26
	v_lshrrev_b32_e32 v51, 16, v27
	s_waitcnt lgkmcnt(1)
	v_lshrrev_b32_e32 v53, 16, v28
	;; [unrolled: 3-line block ×3, first 2 shown]
	v_lshrrev_b32_e32 v17, 16, v23
.LBB0_23:
	s_or_b64 exec, exec, s[2:3]
	v_mul_u32_u24_e32 v24, 6, v3
	v_lshlrev_b32_e32 v24, 2, v24
	global_load_dwordx4 v[60:63], v24, s[12:13] offset:712
	global_load_dwordx2 v[55:56], v24, s[12:13] offset:728
	v_mul_i32_i24_e32 v24, 6, v7
	v_lshlrev_b64 v[24:25], 2, v[24:25]
	v_mov_b32_e32 v57, s13
	v_add_co_u32_e64 v24, s[2:3], s12, v24
	v_addc_co_u32_e64 v25, s[2:3], v57, v25, s[2:3]
	global_load_dwordx4 v[64:67], v[24:25], off offset:712
	global_load_dwordx2 v[68:69], v[24:25], off offset:728
	s_waitcnt lgkmcnt(2)
	v_lshrrev_b32_e32 v73, 16, v41
	v_lshrrev_b32_e32 v74, 16, v39
	;; [unrolled: 1-line block ×10, first 2 shown]
	s_waitcnt lgkmcnt(0)
	v_lshrrev_b32_e32 v70, 16, v59
	v_lshrrev_b32_e32 v72, 16, v32
	s_movk_i32 s8, 0x2b26
	s_movk_i32 s6, 0x3b00
	s_mov_b32 s9, 0xbcab
	s_movk_i32 s7, 0x39e0
	s_mov_b32 s16, 0xb9e0
	;; [unrolled: 2-line block ×3, first 2 shown]
	s_movk_i32 s15, 0x370e
	s_waitcnt lgkmcnt(0)
	; wave barrier
	s_waitcnt vmcnt(3)
	v_mul_f16_sdwa v79, v60, v78 dst_sel:DWORD dst_unused:UNUSED_PAD src0_sel:WORD_1 src1_sel:DWORD
	v_mul_f16_sdwa v80, v60, v31 dst_sel:DWORD dst_unused:UNUSED_PAD src0_sel:WORD_1 src1_sel:DWORD
	v_mul_f16_sdwa v81, v61, v77 dst_sel:DWORD dst_unused:UNUSED_PAD src0_sel:WORD_1 src1_sel:DWORD
	v_mul_f16_sdwa v82, v61, v33 dst_sel:DWORD dst_unused:UNUSED_PAD src0_sel:WORD_1 src1_sel:DWORD
	s_waitcnt vmcnt(2)
	v_mul_f16_sdwa v87, v55, v74 dst_sel:DWORD dst_unused:UNUSED_PAD src0_sel:WORD_1 src1_sel:DWORD
	v_mul_f16_sdwa v88, v55, v39 dst_sel:DWORD dst_unused:UNUSED_PAD src0_sel:WORD_1 src1_sel:DWORD
	;; [unrolled: 1-line block ×8, first 2 shown]
	v_fma_f16 v31, v60, v31, -v79
	v_fma_f16 v60, v60, v78, v80
	v_fma_f16 v33, v61, v33, -v81
	v_fma_f16 v61, v61, v77, v82
	;; [unrolled: 2-line block ×6, first 2 shown]
	s_waitcnt vmcnt(1)
	v_mul_f16_sdwa v75, v65, v71 dst_sel:DWORD dst_unused:UNUSED_PAD src0_sel:WORD_1 src1_sel:DWORD
	v_mul_f16_sdwa v76, v65, v34 dst_sel:DWORD dst_unused:UNUSED_PAD src0_sel:WORD_1 src1_sel:DWORD
	v_mul_f16_sdwa v77, v24, v66 dst_sel:DWORD dst_unused:UNUSED_PAD src0_sel:DWORD src1_sel:WORD_1
	v_mul_f16_sdwa v78, v36, v66 dst_sel:DWORD dst_unused:UNUSED_PAD src0_sel:DWORD src1_sel:WORD_1
	v_add_f16_e32 v85, v31, v41
	v_add_f16_e32 v86, v60, v56
	v_sub_f16_e32 v31, v31, v41
	v_sub_f16_e32 v41, v60, v56
	v_add_f16_e32 v56, v33, v39
	v_add_f16_e32 v60, v61, v55
	v_mul_f16_sdwa v73, v64, v72 dst_sel:DWORD dst_unused:UNUSED_PAD src0_sel:WORD_1 src1_sel:DWORD
	v_mul_f16_sdwa v74, v64, v32 dst_sel:DWORD dst_unused:UNUSED_PAD src0_sel:WORD_1 src1_sel:DWORD
	v_mul_f16_sdwa v79, v25, v67 dst_sel:DWORD dst_unused:UNUSED_PAD src0_sel:DWORD src1_sel:WORD_1
	v_mul_f16_sdwa v80, v38, v67 dst_sel:DWORD dst_unused:UNUSED_PAD src0_sel:DWORD src1_sel:WORD_1
	s_waitcnt vmcnt(0)
	v_mul_f16_sdwa v81, v57, v68 dst_sel:DWORD dst_unused:UNUSED_PAD src0_sel:DWORD src1_sel:WORD_1
	v_mul_f16_sdwa v82, v40, v68 dst_sel:DWORD dst_unused:UNUSED_PAD src0_sel:DWORD src1_sel:WORD_1
	;; [unrolled: 1-line block ×4, first 2 shown]
	v_sub_f16_e32 v33, v33, v39
	v_sub_f16_e32 v39, v61, v55
	v_add_f16_e32 v55, v35, v37
	v_add_f16_e32 v61, v62, v63
	v_sub_f16_e32 v35, v37, v35
	v_sub_f16_e32 v37, v63, v62
	v_fma_f16 v34, v65, v34, -v75
	v_fma_f16 v63, v65, v71, v76
	v_fma_f16 v36, v36, v66, -v77
	v_fma_f16 v24, v24, v66, v78
	v_add_f16_e32 v65, v56, v85
	v_add_f16_e32 v66, v60, v86
	v_fma_f16 v32, v64, v32, -v73
	v_fma_f16 v62, v64, v72, v74
	v_fma_f16 v38, v38, v67, -v79
	v_fma_f16 v25, v25, v67, v80
	;; [unrolled: 2-line block ×4, first 2 shown]
	v_sub_f16_e32 v67, v56, v85
	v_sub_f16_e32 v68, v60, v86
	;; [unrolled: 1-line block ×6, first 2 shown]
	v_add_f16_e32 v71, v35, v33
	v_add_f16_e32 v72, v37, v39
	v_sub_f16_e32 v73, v35, v33
	v_sub_f16_e32 v74, v37, v39
	;; [unrolled: 1-line block ×4, first 2 shown]
	v_add_f16_e32 v55, v55, v65
	v_add_f16_e32 v61, v61, v66
	v_sub_f16_e32 v35, v31, v35
	v_sub_f16_e32 v37, v41, v37
	v_add_f16_e32 v31, v71, v31
	v_add_f16_e32 v41, v72, v41
	;; [unrolled: 1-line block ×3, first 2 shown]
	v_add_f16_sdwa v30, v61, v30 dst_sel:DWORD dst_unused:UNUSED_PAD src0_sel:DWORD src1_sel:WORD_1
	v_mul_f16_e32 v66, 0x3a52, v69
	v_mul_f16_e32 v69, 0x3a52, v70
	;; [unrolled: 1-line block ×8, first 2 shown]
	v_fma_f16 v55, v55, s9, v65
	v_fma_f16 v61, v61, s9, v30
	;; [unrolled: 1-line block ×4, first 2 shown]
	v_fma_f16 v70, v67, s7, -v70
	v_fma_f16 v71, v68, s7, -v71
	;; [unrolled: 1-line block ×4, first 2 shown]
	v_fma_f16 v68, v35, s17, v72
	v_fma_f16 v69, v37, s17, v73
	v_fma_f16 v33, v33, s6, -v72
	v_fma_f16 v35, v35, s14, -v74
	;; [unrolled: 1-line block ×4, first 2 shown]
	v_add_f16_e32 v56, v56, v55
	v_add_f16_e32 v60, v60, v61
	;; [unrolled: 1-line block ×6, first 2 shown]
	v_fma_f16 v66, v31, s15, v68
	v_fma_f16 v67, v41, s15, v69
	;; [unrolled: 1-line block ×6, first 2 shown]
	v_add_f16_e32 v37, v67, v56
	v_sub_f16_e32 v41, v60, v66
	v_add_f16_e32 v68, v35, v55
	v_sub_f16_e32 v69, v61, v31
	v_sub_f16_e32 v35, v55, v35
	v_add_f16_e32 v31, v31, v61
	v_sub_f16_e32 v55, v56, v67
	v_add_f16_e32 v56, v66, v60
	v_add_f16_e32 v60, v32, v59
	;; [unrolled: 1-line block ×3, first 2 shown]
	v_sub_f16_e32 v32, v32, v59
	v_sub_f16_e32 v59, v62, v64
	v_add_f16_e32 v62, v34, v40
	v_add_f16_e32 v64, v63, v57
	v_sub_f16_e32 v34, v34, v40
	v_sub_f16_e32 v40, v63, v57
	v_add_f16_e32 v57, v36, v38
	v_add_f16_e32 v63, v24, v25
	;; [unrolled: 4-line block ×3, first 2 shown]
	v_sub_f16_e32 v72, v70, v39
	v_add_f16_e32 v73, v33, v71
	v_add_f16_e32 v39, v39, v70
	v_sub_f16_e32 v33, v71, v33
	v_sub_f16_e32 v66, v62, v60
	;; [unrolled: 1-line block ×7, first 2 shown]
	v_add_f16_e32 v70, v36, v34
	v_add_f16_e32 v71, v24, v40
	v_sub_f16_e32 v74, v36, v34
	v_sub_f16_e32 v75, v24, v40
	v_add_f16_e32 v25, v57, v25
	v_add_f16_e32 v38, v63, v38
	v_sub_f16_e32 v36, v32, v36
	v_sub_f16_e32 v24, v59, v24
	;; [unrolled: 1-line block ×4, first 2 shown]
	v_add_f16_e32 v32, v70, v32
	v_add_f16_e32 v57, v71, v59
	;; [unrolled: 1-line block ×3, first 2 shown]
	v_add_f16_sdwa v58, v38, v58 dst_sel:DWORD dst_unused:UNUSED_PAD src0_sel:DWORD src1_sel:WORD_1
	v_mul_f16_e32 v60, 0x3a52, v60
	v_mul_f16_e32 v61, 0x3a52, v61
	;; [unrolled: 1-line block ×6, first 2 shown]
	v_pack_b32_f16 v30, v65, v30
	v_pack_b32_f16 v37, v37, v41
	v_mul_f16_e32 v75, 0x3b00, v34
	v_mul_f16_e32 v76, 0x3b00, v40
	v_fma_f16 v25, v25, s9, v59
	v_fma_f16 v38, v38, s9, v58
	;; [unrolled: 1-line block ×4, first 2 shown]
	v_fma_f16 v63, v66, s7, -v63
	v_fma_f16 v70, v67, s7, -v70
	;; [unrolled: 1-line block ×4, first 2 shown]
	v_fma_f16 v66, v36, s17, v71
	v_fma_f16 v67, v24, s17, v74
	ds_write2_b32 v11, v30, v37 offset1:180
	v_pack_b32_f16 v30, v68, v69
	v_pack_b32_f16 v37, v72, v73
	v_add_u32_e32 v41, 0x500, v11
	v_fma_f16 v34, v34, s6, -v71
	v_fma_f16 v40, v40, s6, -v74
	;; [unrolled: 1-line block ×4, first 2 shown]
	v_add_f16_e32 v62, v62, v25
	v_add_f16_e32 v64, v64, v38
	;; [unrolled: 1-line block ×6, first 2 shown]
	v_fma_f16 v60, v32, s15, v66
	v_fma_f16 v61, v57, s15, v67
	ds_write2_b32 v41, v30, v37 offset0:40 offset1:220
	v_pack_b32_f16 v30, v39, v33
	v_pack_b32_f16 v31, v35, v31
	v_add_u32_e32 v33, 0xb00, v11
	v_fma_f16 v34, v32, s15, v34
	v_fma_f16 v40, v57, s15, v40
	v_fma_f16 v32, v32, s15, v36
	v_fma_f16 v24, v57, s15, v24
	v_add_f16_e32 v36, v61, v62
	v_sub_f16_e32 v57, v64, v60
	ds_write2_b32 v33, v30, v31 offset0:16 offset1:196
	v_pack_b32_f16 v30, v55, v56
	v_add_f16_e32 v66, v24, v25
	v_sub_f16_e32 v67, v38, v32
	v_sub_f16_e32 v71, v63, v40
	v_add_f16_e32 v74, v34, v70
	ds_write_b32 v11, v30 offset:4320
	v_pack_b32_f16 v30, v59, v58
	v_pack_b32_f16 v31, v36, v57
	v_add_f16_e32 v40, v40, v63
	v_sub_f16_e32 v34, v70, v34
	v_sub_f16_e32 v24, v25, v24
	v_add_f16_e32 v25, v32, v38
	ds_write2_b32 v48, v30, v31 offset1:180
	v_pack_b32_f16 v30, v66, v67
	v_pack_b32_f16 v31, v71, v74
	v_add_u32_e32 v33, 0x500, v48
	v_sub_f16_e32 v32, v62, v61
	v_add_f16_e32 v38, v60, v64
	ds_write2_b32 v33, v30, v31 offset0:40 offset1:220
	v_pack_b32_f16 v30, v40, v34
	v_pack_b32_f16 v24, v24, v25
	v_add_u32_e32 v25, 0xb00, v48
	ds_write2_b32 v25, v30, v24 offset0:16 offset1:196
	v_pack_b32_f16 v24, v32, v38
	ds_write_b32 v48, v24 offset:4320
	s_and_saveexec_b64 s[2:3], vcc
	s_cbranch_execz .LBB0_25
; %bb.24:
	v_subrev_u32_e32 v24, 54, v3
	v_cndmask_b32_e32 v24, v24, v21, vcc
	v_mul_i32_i24_e32 v24, 6, v24
	v_mov_b32_e32 v25, 0
	v_lshlrev_b64 v[24:25], 2, v[24:25]
	v_mov_b32_e32 v30, s13
	v_add_co_u32_e32 v24, vcc, s12, v24
	v_addc_co_u32_e32 v25, vcc, v30, v25, vcc
	global_load_dwordx4 v[30:33], v[24:25], off offset:712
	global_load_dwordx2 v[34:35], v[24:25], off offset:728
	s_waitcnt vmcnt(1)
	v_mul_f16_sdwa v24, v50, v30 dst_sel:DWORD dst_unused:UNUSED_PAD src0_sel:DWORD src1_sel:WORD_1
	s_waitcnt vmcnt(0)
	v_mul_f16_sdwa v25, v17, v35 dst_sel:DWORD dst_unused:UNUSED_PAD src0_sel:DWORD src1_sel:WORD_1
	v_mul_f16_sdwa v36, v54, v33 dst_sel:DWORD dst_unused:UNUSED_PAD src0_sel:DWORD src1_sel:WORD_1
	;; [unrolled: 1-line block ×11, first 2 shown]
	v_fma_f16 v24, v26, v30, -v24
	v_fma_f16 v23, v23, v35, -v25
	;; [unrolled: 1-line block ×6, first 2 shown]
	v_fma_f16 v17, v17, v35, v40
	v_fma_f16 v28, v50, v30, v41
	;; [unrolled: 1-line block ×6, first 2 shown]
	v_sub_f16_e32 v33, v24, v23
	v_sub_f16_e32 v34, v25, v26
	;; [unrolled: 1-line block ×3, first 2 shown]
	v_add_f16_e32 v36, v28, v17
	v_add_f16_e32 v38, v31, v32
	;; [unrolled: 1-line block ×5, first 2 shown]
	v_sub_f16_e32 v17, v28, v17
	v_sub_f16_e32 v25, v30, v29
	;; [unrolled: 1-line block ×3, first 2 shown]
	v_add_f16_e32 v37, v29, v30
	v_add_f16_e32 v32, v38, v36
	;; [unrolled: 1-line block ×3, first 2 shown]
	v_sub_f16_e32 v41, v17, v25
	v_sub_f16_e32 v50, v25, v26
	v_add_f16_e32 v25, v25, v26
	v_sub_f16_e32 v27, v33, v34
	v_sub_f16_e32 v28, v34, v35
	v_add_f16_e32 v29, v34, v35
	v_sub_f16_e32 v30, v36, v37
	v_sub_f16_e32 v34, v23, v24
	;; [unrolled: 1-line block ×4, first 2 shown]
	v_add_f16_e32 v32, v37, v32
	v_add_f16_e32 v24, v24, v40
	;; [unrolled: 1-line block ×3, first 2 shown]
	v_sub_f16_e32 v17, v26, v17
	v_sub_f16_e32 v31, v37, v38
	;; [unrolled: 1-line block ×4, first 2 shown]
	v_mul_f16_e32 v23, 0xb846, v28
	v_add_f16_e32 v28, v29, v33
	v_mul_f16_e32 v29, 0x3a52, v30
	v_mul_f16_e32 v33, 0x3a52, v34
	;; [unrolled: 1-line block ×5, first 2 shown]
	v_add_f16_e32 v19, v19, v32
	v_add_f16_e32 v15, v15, v24
	v_mul_f16_e32 v26, 0x3b00, v17
	v_mul_f16_e32 v30, 0x2b26, v31
	v_fma_f16 v40, v27, s17, v23
	v_fma_f16 v31, v31, s8, v29
	;; [unrolled: 1-line block ×4, first 2 shown]
	v_fma_f16 v27, v27, s14, -v38
	v_fma_f16 v29, v36, s16, -v29
	;; [unrolled: 1-line block ×3, first 2 shown]
	v_fma_f16 v32, v32, s9, v19
	v_fma_f16 v24, v24, s9, v15
	v_fma_f16 v26, v41, s14, -v26
	v_fma_f16 v17, v17, s6, -v37
	;; [unrolled: 1-line block ×3, first 2 shown]
	v_fma_f16 v38, v28, s15, v40
	v_fma_f16 v40, v25, s15, v50
	;; [unrolled: 1-line block ×3, first 2 shown]
	v_add_f16_e32 v31, v31, v32
	v_add_f16_e32 v39, v39, v24
	;; [unrolled: 1-line block ×4, first 2 shown]
	v_fma_f16 v26, v25, s15, v26
	v_fma_f16 v30, v36, s7, -v30
	v_fma_f16 v23, v35, s6, -v23
	v_fma_f16 v17, v25, s15, v17
	v_add_f16_e32 v22, v22, v24
	v_add_f16_e32 v52, v27, v29
	v_sub_f16_e32 v41, v33, v26
	v_add_f16_e32 v30, v30, v32
	v_fma_f16 v23, v28, s15, v23
	v_add_f16_e32 v24, v17, v22
	v_sub_f16_e32 v17, v22, v17
	v_sub_f16_e32 v22, v29, v27
	v_add_f16_e32 v25, v26, v33
	v_sub_f16_e32 v26, v31, v38
	v_add_f16_e32 v27, v40, v39
	v_sub_f16_e32 v28, v30, v23
	v_add_f16_e32 v23, v23, v30
	v_pack_b32_f16 v15, v15, v19
	v_pack_b32_f16 v19, v27, v26
	v_add_u32_e32 v26, 0x100, v11
	ds_write2_b32 v26, v15, v19 offset0:62 offset1:242
	v_pack_b32_f16 v15, v25, v22
	v_pack_b32_f16 v17, v17, v23
	v_add_u32_e32 v19, 0x700, v11
	v_add_f16_e32 v50, v38, v31
	v_sub_f16_e32 v51, v39, v40
	ds_write2_b32 v19, v15, v17 offset0:38 offset1:218
	v_pack_b32_f16 v15, v24, v28
	v_pack_b32_f16 v17, v41, v52
	v_add_u32_e32 v19, 0xd00, v11
	ds_write2_b32 v19, v15, v17 offset0:14 offset1:194
	v_pack_b32_f16 v15, v51, v50
	ds_write_b32 v11, v15 offset:4824
.LBB0_25:
	s_or_b64 exec, exec, s[2:3]
	s_waitcnt lgkmcnt(0)
	; wave barrier
	s_waitcnt lgkmcnt(0)
	ds_read_b32 v19, v11
	s_add_u32 s6, s12, 0x13a8
	s_addc_u32 s7, s13, 0
	v_sub_u32_e32 v23, 0, v4
	v_cmp_ne_u32_e32 vcc, 0, v3
                                        ; implicit-def: $vgpr22
                                        ; implicit-def: $vgpr15
                                        ; implicit-def: $vgpr17
	s_and_saveexec_b64 s[2:3], vcc
	s_xor_b64 s[2:3], exec, s[2:3]
	s_cbranch_execz .LBB0_27
; %bb.26:
	v_mov_b32_e32 v4, 0
	v_lshlrev_b64 v[24:25], 2, v[3:4]
	v_mov_b32_e32 v4, s7
	v_add_co_u32_e32 v24, vcc, s6, v24
	v_addc_co_u32_e32 v25, vcc, v4, v25, vcc
	global_load_dword v4, v[24:25], off
	ds_read_b32 v15, v23 offset:5040
	s_mov_b32 s8, 0xffff
	s_waitcnt lgkmcnt(0)
	v_pk_add_f16 v17, v19, v15 neg_lo:[0,1] neg_hi:[0,1]
	v_pk_add_f16 v15, v15, v19
	v_bfi_b32 v19, s8, v17, v15
	v_bfi_b32 v15, s8, v15, v17
	v_pk_mul_f16 v17, v19, 0.5 op_sel_hi:[1,0]
	v_pk_mul_f16 v19, v15, 0.5 op_sel_hi:[1,0]
	s_waitcnt vmcnt(0)
	v_pk_mul_f16 v22, v4, v17 op_sel:[1,0]
	v_pk_mul_f16 v4, v4, v17 op_sel_hi:[0,1]
	v_pk_fma_f16 v15, v15, 0.5, v22 op_sel_hi:[1,0,1]
	v_sub_f16_e32 v17, v19, v22
	v_sub_f16_sdwa v19, v22, v19 dst_sel:DWORD dst_unused:UNUSED_PAD src0_sel:WORD_1 src1_sel:WORD_1
	v_pk_add_f16 v22, v15, v4 op_sel:[0,1] op_sel_hi:[1,0]
	v_pk_add_f16 v24, v15, v4 op_sel:[0,1] op_sel_hi:[1,0] neg_lo:[0,1] neg_hi:[0,1]
	v_sub_f16_sdwa v15, v17, v4 dst_sel:DWORD dst_unused:UNUSED_PAD src0_sel:DWORD src1_sel:WORD_1
	v_bfi_b32 v22, s8, v22, v24
	v_sub_f16_e32 v17, v19, v4
                                        ; implicit-def: $vgpr19
.LBB0_27:
	s_or_saveexec_b64 s[2:3], s[2:3]
	v_sub_u32_e32 v24, 0, v8
	v_sub_u32_e32 v4, 0, v13
	s_xor_b64 exec, exec, s[2:3]
	s_cbranch_execz .LBB0_29
; %bb.28:
	v_mov_b32_e32 v17, 0
	ds_read_u16 v8, v17 offset:2522
	s_waitcnt lgkmcnt(1)
	v_alignbit_b32 v13, s0, v19, 16
	v_pk_add_f16 v13, v13, v19
	v_sub_f16_sdwa v15, v19, v19 dst_sel:DWORD dst_unused:UNUSED_PAD src0_sel:DWORD src1_sel:WORD_1
	v_pack_b32_f16 v22, v13, 0
	s_waitcnt lgkmcnt(0)
	v_xor_b32_e32 v8, 0x8000, v8
	ds_write_b16 v17, v8 offset:2522
.LBB0_29:
	s_or_b64 exec, exec, s[2:3]
	v_mov_b32_e32 v8, 0
	v_lshlrev_b64 v[25:26], 2, v[7:8]
	v_mov_b32_e32 v7, s7
	v_add_co_u32_e32 v25, vcc, s6, v25
	v_addc_co_u32_e32 v26, vcc, v7, v26, vcc
	global_load_dword v7, v[25:26], off
	ds_write_b16 v23, v17 offset:5042
	ds_write_b32 v11, v22
	ds_write_b16 v23, v15 offset:5040
	v_mov_b32_e32 v22, v8
	v_lshlrev_b64 v[21:22], 2, v[21:22]
	v_mov_b32_e32 v11, s7
	v_add_co_u32_e32 v21, vcc, s6, v21
	v_addc_co_u32_e32 v22, vcc, v11, v22, vcc
	global_load_dword v22, v[21:22], off
	v_mov_b32_e32 v11, v8
	v_lshlrev_b64 v[10:11], 2, v[10:11]
	v_mov_b32_e32 v25, s7
	v_add_co_u32_e32 v10, vcc, s6, v10
	v_addc_co_u32_e32 v11, vcc, v25, v11, vcc
	ds_read_b32 v31, v48
	ds_read_b32 v32, v23 offset:4788
	global_load_dword v25, v[10:11], off
	v_mov_b32_e32 v13, v8
	v_lshlrev_b64 v[12:13], 2, v[12:13]
	v_mov_b32_e32 v15, v8
	v_mov_b32_e32 v26, s7
	v_lshlrev_b64 v[14:15], 2, v[14:15]
	v_add_co_u32_e32 v10, vcc, s6, v12
	v_mov_b32_e32 v17, v8
	v_addc_co_u32_e32 v11, vcc, v26, v13, vcc
	v_mov_b32_e32 v27, s7
	v_lshlrev_b64 v[16:17], 2, v[16:17]
	v_add_co_u32_e32 v12, vcc, s6, v14
	s_waitcnt lgkmcnt(5)
	v_mov_b32_e32 v19, v8
	v_addc_co_u32_e32 v13, vcc, v27, v15, vcc
	v_mov_b32_e32 v28, s7
	v_lshlrev_b64 v[18:19], 2, v[18:19]
	v_add_co_u32_e32 v14, vcc, s6, v16
	v_mov_b32_e32 v21, v8
	v_addc_co_u32_e32 v15, vcc, v28, v17, vcc
	v_mov_b32_e32 v29, s7
	v_lshlrev_b64 v[20:21], 2, v[20:21]
	v_add_co_u32_e32 v16, vcc, s6, v18
	v_addc_co_u32_e32 v17, vcc, v29, v19, vcc
	v_mov_b32_e32 v30, s7
	v_add_co_u32_e32 v18, vcc, s6, v20
	v_addc_co_u32_e32 v19, vcc, v30, v21, vcc
	global_load_dword v20, v[10:11], off
	global_load_dword v21, v[12:13], off
	;; [unrolled: 1-line block ×5, first 2 shown]
	s_mov_b32 s2, 0xffff
	s_waitcnt lgkmcnt(0)
	v_pk_add_f16 v10, v31, v32 neg_lo:[0,1] neg_hi:[0,1]
	v_pk_add_f16 v11, v31, v32
	v_bfi_b32 v12, s2, v10, v11
	v_bfi_b32 v10, s2, v11, v10
	v_pk_mul_f16 v11, v12, 0.5 op_sel_hi:[1,0]
	v_pk_mul_f16 v10, v10, 0.5 op_sel_hi:[1,0]
	v_add_u32_e32 v0, v0, v4
	s_waitcnt vmcnt(7)
	v_pk_fma_f16 v12, v7, v11, v10 op_sel:[1,0,0]
	v_pk_mul_f16 v13, v7, v11 op_sel_hi:[0,1]
	v_pk_fma_f16 v14, v7, v11, v10 op_sel:[1,0,0] neg_lo:[1,0,0] neg_hi:[1,0,0]
	v_pk_fma_f16 v7, v7, v11, v10 op_sel:[1,0,0] neg_lo:[0,0,1] neg_hi:[0,0,1]
	v_pk_add_f16 v10, v12, v13 op_sel:[0,1] op_sel_hi:[1,0]
	v_pk_add_f16 v11, v12, v13 op_sel:[0,1] op_sel_hi:[1,0] neg_lo:[0,1] neg_hi:[0,1]
	v_pk_add_f16 v12, v14, v13 op_sel:[0,1] op_sel_hi:[1,0] neg_lo:[0,1] neg_hi:[0,1]
	;; [unrolled: 1-line block ×3, first 2 shown]
	v_bfi_b32 v10, s2, v10, v11
	v_bfi_b32 v7, s2, v12, v7
	ds_write_b32 v48, v10
	ds_write_b32 v23, v7 offset:4788
	ds_read_b32 v7, v47
	ds_read_b32 v10, v23 offset:4536
	s_waitcnt lgkmcnt(0)
	v_pk_add_f16 v11, v7, v10 neg_lo:[0,1] neg_hi:[0,1]
	v_pk_add_f16 v7, v7, v10
	v_bfi_b32 v10, s2, v11, v7
	v_bfi_b32 v7, s2, v7, v11
	v_pk_mul_f16 v10, v10, 0.5 op_sel_hi:[1,0]
	v_pk_mul_f16 v7, v7, 0.5 op_sel_hi:[1,0]
	s_waitcnt vmcnt(6)
	v_pk_fma_f16 v11, v22, v10, v7 op_sel:[1,0,0]
	v_pk_mul_f16 v12, v22, v10 op_sel_hi:[0,1]
	v_pk_add_f16 v13, v11, v12 op_sel:[0,1] op_sel_hi:[1,0]
	v_pk_add_f16 v11, v11, v12 op_sel:[0,1] op_sel_hi:[1,0] neg_lo:[0,1] neg_hi:[0,1]
	v_bfi_b32 v11, s2, v13, v11
	v_pk_fma_f16 v13, v22, v10, v7 op_sel:[1,0,0] neg_lo:[1,0,0] neg_hi:[1,0,0]
	v_pk_fma_f16 v7, v22, v10, v7 op_sel:[1,0,0] neg_lo:[0,0,1] neg_hi:[0,0,1]
	v_pk_add_f16 v13, v13, v12 op_sel:[0,1] op_sel_hi:[1,0] neg_lo:[0,1] neg_hi:[0,1]
	v_pk_add_f16 v7, v7, v12 op_sel:[0,1] op_sel_hi:[1,0] neg_lo:[0,1] neg_hi:[0,1]
	v_bfi_b32 v7, s2, v13, v7
	ds_write_b32 v47, v11
	ds_write_b32 v23, v7 offset:4536
	ds_read_b32 v7, v46
	ds_read_b32 v10, v23 offset:4284
	s_waitcnt lgkmcnt(0)
	v_pk_add_f16 v11, v7, v10 neg_lo:[0,1] neg_hi:[0,1]
	v_pk_add_f16 v7, v7, v10
	v_bfi_b32 v10, s2, v11, v7
	v_bfi_b32 v7, s2, v7, v11
	v_pk_mul_f16 v10, v10, 0.5 op_sel_hi:[1,0]
	v_pk_mul_f16 v7, v7, 0.5 op_sel_hi:[1,0]
	s_waitcnt vmcnt(5)
	v_pk_fma_f16 v11, v25, v10, v7 op_sel:[1,0,0]
	v_pk_mul_f16 v12, v25, v10 op_sel_hi:[0,1]
	v_pk_add_f16 v13, v11, v12 op_sel:[0,1] op_sel_hi:[1,0]
	v_pk_add_f16 v11, v11, v12 op_sel:[0,1] op_sel_hi:[1,0] neg_lo:[0,1] neg_hi:[0,1]
	v_bfi_b32 v11, s2, v13, v11
	v_pk_fma_f16 v13, v25, v10, v7 op_sel:[1,0,0] neg_lo:[1,0,0] neg_hi:[1,0,0]
	v_pk_fma_f16 v7, v25, v10, v7 op_sel:[1,0,0] neg_lo:[0,0,1] neg_hi:[0,0,1]
	v_pk_add_f16 v13, v13, v12 op_sel:[0,1] op_sel_hi:[1,0] neg_lo:[0,1] neg_hi:[0,1]
	v_pk_add_f16 v7, v7, v12 op_sel:[0,1] op_sel_hi:[1,0] neg_lo:[0,1] neg_hi:[0,1]
	;; [unrolled: 22-line block ×3, first 2 shown]
	v_bfi_b32 v7, s2, v13, v7
	ds_write_b32 v45, v11
	ds_write_b32 v23, v7 offset:4032
	ds_read_b32 v7, v44
	ds_read_b32 v10, v23 offset:3780
	s_waitcnt lgkmcnt(0)
	v_pk_add_f16 v11, v7, v10 neg_lo:[0,1] neg_hi:[0,1]
	v_pk_add_f16 v7, v7, v10
	v_bfi_b32 v10, s2, v11, v7
	v_bfi_b32 v7, s2, v7, v11
	v_pk_mul_f16 v10, v10, 0.5 op_sel_hi:[1,0]
	v_pk_mul_f16 v7, v7, 0.5 op_sel_hi:[1,0]
	s_waitcnt vmcnt(3)
	v_pk_fma_f16 v11, v21, v10, v7 op_sel:[1,0,0]
	v_pk_mul_f16 v12, v21, v10 op_sel_hi:[0,1]
	v_pk_add_f16 v13, v11, v12 op_sel:[0,1] op_sel_hi:[1,0]
	v_pk_add_f16 v11, v11, v12 op_sel:[0,1] op_sel_hi:[1,0] neg_lo:[0,1] neg_hi:[0,1]
	v_bfi_b32 v11, s2, v13, v11
	v_pk_fma_f16 v13, v21, v10, v7 op_sel:[1,0,0] neg_lo:[1,0,0] neg_hi:[1,0,0]
	v_pk_fma_f16 v7, v21, v10, v7 op_sel:[1,0,0] neg_lo:[0,0,1] neg_hi:[0,0,1]
	v_mov_b32_e32 v10, v8
	v_lshlrev_b64 v[9:10], 2, v[9:10]
	v_pk_add_f16 v13, v13, v12 op_sel:[0,1] op_sel_hi:[1,0] neg_lo:[0,1] neg_hi:[0,1]
	v_pk_add_f16 v7, v7, v12 op_sel:[0,1] op_sel_hi:[1,0] neg_lo:[0,1] neg_hi:[0,1]
	v_bfi_b32 v7, s2, v13, v7
	v_mov_b32_e32 v13, s7
	v_add_co_u32_e32 v9, vcc, s6, v9
	ds_write_b32 v44, v11
	ds_write_b32 v23, v7 offset:3780
	v_addc_co_u32_e32 v10, vcc, v13, v10, vcc
	ds_read_b32 v7, v43
	ds_read_b32 v11, v23 offset:3528
	global_load_dword v9, v[9:10], off
	s_waitcnt lgkmcnt(0)
	v_pk_add_f16 v12, v7, v11 neg_lo:[0,1] neg_hi:[0,1]
	v_pk_add_f16 v7, v7, v11
	v_bfi_b32 v10, s2, v12, v7
	v_bfi_b32 v7, s2, v7, v12
	v_pk_mul_f16 v10, v10, 0.5 op_sel_hi:[1,0]
	v_pk_mul_f16 v7, v7, 0.5 op_sel_hi:[1,0]
	s_waitcnt vmcnt(3)
	v_pk_fma_f16 v11, v26, v10, v7 op_sel:[1,0,0]
	v_pk_mul_f16 v12, v26, v10 op_sel_hi:[0,1]
	v_pk_add_f16 v13, v11, v12 op_sel:[0,1] op_sel_hi:[1,0]
	v_pk_add_f16 v11, v11, v12 op_sel:[0,1] op_sel_hi:[1,0] neg_lo:[0,1] neg_hi:[0,1]
	v_bfi_b32 v11, s2, v13, v11
	v_pk_fma_f16 v13, v26, v10, v7 op_sel:[1,0,0] neg_lo:[1,0,0] neg_hi:[1,0,0]
	v_pk_fma_f16 v7, v26, v10, v7 op_sel:[1,0,0] neg_lo:[0,0,1] neg_hi:[0,0,1]
	v_pk_add_f16 v13, v13, v12 op_sel:[0,1] op_sel_hi:[1,0] neg_lo:[0,1] neg_hi:[0,1]
	v_pk_add_f16 v7, v7, v12 op_sel:[0,1] op_sel_hi:[1,0] neg_lo:[0,1] neg_hi:[0,1]
	v_bfi_b32 v7, s2, v13, v7
	ds_write_b32 v43, v11
	ds_write_b32 v23, v7 offset:3528
	v_add_u32_e32 v7, v42, v24
	ds_read_b32 v10, v7
	ds_read_b32 v11, v23 offset:3276
	s_waitcnt lgkmcnt(0)
	v_pk_add_f16 v12, v10, v11 neg_lo:[0,1] neg_hi:[0,1]
	v_pk_add_f16 v10, v10, v11
	v_bfi_b32 v11, s2, v12, v10
	v_bfi_b32 v10, s2, v10, v12
	v_pk_mul_f16 v11, v11, 0.5 op_sel_hi:[1,0]
	v_pk_mul_f16 v10, v10, 0.5 op_sel_hi:[1,0]
	s_waitcnt vmcnt(2)
	v_pk_fma_f16 v12, v27, v11, v10 op_sel:[1,0,0]
	v_pk_mul_f16 v13, v27, v11 op_sel_hi:[0,1]
	v_pk_add_f16 v14, v12, v13 op_sel:[0,1] op_sel_hi:[1,0]
	v_pk_add_f16 v12, v12, v13 op_sel:[0,1] op_sel_hi:[1,0] neg_lo:[0,1] neg_hi:[0,1]
	v_bfi_b32 v12, s2, v14, v12
	v_pk_fma_f16 v14, v27, v11, v10 op_sel:[1,0,0] neg_lo:[1,0,0] neg_hi:[1,0,0]
	v_pk_fma_f16 v10, v27, v11, v10 op_sel:[1,0,0] neg_lo:[0,0,1] neg_hi:[0,0,1]
	v_pk_add_f16 v14, v14, v13 op_sel:[0,1] op_sel_hi:[1,0] neg_lo:[0,1] neg_hi:[0,1]
	v_pk_add_f16 v10, v10, v13 op_sel:[0,1] op_sel_hi:[1,0] neg_lo:[0,1] neg_hi:[0,1]
	ds_write_b32 v7, v12
	v_bfi_b32 v7, s2, v14, v10
	ds_write_b32 v23, v7 offset:3276
	ds_read_b32 v7, v49
	ds_read_b32 v10, v23 offset:3024
	s_waitcnt lgkmcnt(0)
	v_pk_add_f16 v11, v7, v10 neg_lo:[0,1] neg_hi:[0,1]
	v_pk_add_f16 v7, v7, v10
	v_bfi_b32 v10, s2, v11, v7
	v_bfi_b32 v7, s2, v7, v11
	v_pk_mul_f16 v10, v10, 0.5 op_sel_hi:[1,0]
	v_pk_mul_f16 v7, v7, 0.5 op_sel_hi:[1,0]
	s_waitcnt vmcnt(1)
	v_pk_fma_f16 v11, v28, v10, v7 op_sel:[1,0,0]
	v_pk_mul_f16 v12, v28, v10 op_sel_hi:[0,1]
	v_pk_add_f16 v13, v11, v12 op_sel:[0,1] op_sel_hi:[1,0]
	v_pk_add_f16 v11, v11, v12 op_sel:[0,1] op_sel_hi:[1,0] neg_lo:[0,1] neg_hi:[0,1]
	v_bfi_b32 v11, s2, v13, v11
	v_pk_fma_f16 v13, v28, v10, v7 op_sel:[1,0,0] neg_lo:[1,0,0] neg_hi:[1,0,0]
	v_pk_fma_f16 v7, v28, v10, v7 op_sel:[1,0,0] neg_lo:[0,0,1] neg_hi:[0,0,1]
	v_pk_add_f16 v13, v13, v12 op_sel:[0,1] op_sel_hi:[1,0] neg_lo:[0,1] neg_hi:[0,1]
	v_pk_add_f16 v7, v7, v12 op_sel:[0,1] op_sel_hi:[1,0] neg_lo:[0,1] neg_hi:[0,1]
	v_bfi_b32 v7, s2, v13, v7
	ds_write_b32 v49, v11
	ds_write_b32 v23, v7 offset:3024
	ds_read_b32 v4, v0
	ds_read_b32 v7, v23 offset:2772
	s_waitcnt lgkmcnt(0)
	v_pk_add_f16 v10, v4, v7 neg_lo:[0,1] neg_hi:[0,1]
	v_pk_add_f16 v4, v4, v7
	v_bfi_b32 v7, s2, v10, v4
	v_bfi_b32 v4, s2, v4, v10
	v_pk_mul_f16 v7, v7, 0.5 op_sel_hi:[1,0]
	v_pk_mul_f16 v4, v4, 0.5 op_sel_hi:[1,0]
	s_waitcnt vmcnt(0)
	v_pk_fma_f16 v10, v9, v7, v4 op_sel:[1,0,0]
	v_pk_mul_f16 v11, v9, v7 op_sel_hi:[0,1]
	v_pk_add_f16 v12, v10, v11 op_sel:[0,1] op_sel_hi:[1,0]
	v_pk_add_f16 v10, v10, v11 op_sel:[0,1] op_sel_hi:[1,0] neg_lo:[0,1] neg_hi:[0,1]
	v_bfi_b32 v10, s2, v12, v10
	v_pk_fma_f16 v12, v9, v7, v4 op_sel:[1,0,0] neg_lo:[1,0,0] neg_hi:[1,0,0]
	v_pk_fma_f16 v4, v9, v7, v4 op_sel:[1,0,0] neg_lo:[0,0,1] neg_hi:[0,0,1]
	v_pk_add_f16 v12, v12, v11 op_sel:[0,1] op_sel_hi:[1,0] neg_lo:[0,1] neg_hi:[0,1]
	v_pk_add_f16 v4, v4, v11 op_sel:[0,1] op_sel_hi:[1,0] neg_lo:[0,1] neg_hi:[0,1]
	ds_write_b32 v0, v10
	v_bfi_b32 v0, s2, v12, v4
	ds_write_b32 v23, v0 offset:2772
	s_waitcnt lgkmcnt(0)
	; wave barrier
	s_waitcnt lgkmcnt(0)
	s_and_saveexec_b64 s[2:3], s[0:1]
	s_cbranch_execz .LBB0_32
; %bb.30:
	v_mul_lo_u32 v0, s5, v5
	v_mul_lo_u32 v4, s4, v6
	v_mad_u64_u32 v[5:6], s[0:1], s4, v5, 0
	v_lshl_add_u32 v11, v3, 2, 0
	v_lshlrev_b64 v[1:2], 2, v[1:2]
	v_add3_u32 v6, v6, v4, v0
	v_lshlrev_b64 v[5:6], 2, v[5:6]
	v_mov_b32_e32 v0, s11
	v_add_co_u32_e32 v5, vcc, s10, v5
	v_mov_b32_e32 v4, v8
	ds_read2_b32 v[9:10], v11 offset1:63
	v_addc_co_u32_e32 v0, vcc, v0, v6, vcc
	v_add_co_u32_e32 v1, vcc, v5, v1
	v_lshlrev_b64 v[4:5], 2, v[3:4]
	v_addc_co_u32_e32 v0, vcc, v0, v2, vcc
	v_add_co_u32_e32 v4, vcc, v1, v4
	v_addc_co_u32_e32 v5, vcc, v0, v5, vcc
	v_add_u32_e32 v7, 63, v3
	s_waitcnt lgkmcnt(0)
	global_store_dword v[4:5], v9, off
	v_lshlrev_b64 v[4:5], 2, v[7:8]
	v_add_u32_e32 v7, 0x7e, v3
	v_add_co_u32_e32 v4, vcc, v1, v4
	v_addc_co_u32_e32 v5, vcc, v0, v5, vcc
	global_store_dword v[4:5], v10, off
	ds_read2_b32 v[4:5], v11 offset0:126 offset1:189
	v_lshlrev_b64 v[6:7], 2, v[7:8]
	v_add_u32_e32 v2, 0x200, v11
	v_add_co_u32_e32 v6, vcc, v1, v6
	v_addc_co_u32_e32 v7, vcc, v0, v7, vcc
	s_waitcnt lgkmcnt(0)
	global_store_dword v[6:7], v4, off
	v_add_u32_e32 v7, 0xbd, v3
	v_lshlrev_b64 v[6:7], 2, v[7:8]
	v_add_co_u32_e32 v6, vcc, v1, v6
	v_addc_co_u32_e32 v7, vcc, v0, v7, vcc
	global_store_dword v[6:7], v5, off
	v_add_u32_e32 v7, 0xfc, v3
	ds_read2_b32 v[4:5], v2 offset0:124 offset1:187
	v_lshlrev_b64 v[6:7], 2, v[7:8]
	v_add_u32_e32 v2, 0x400, v11
	v_add_co_u32_e32 v6, vcc, v1, v6
	v_addc_co_u32_e32 v7, vcc, v0, v7, vcc
	s_waitcnt lgkmcnt(0)
	global_store_dword v[6:7], v4, off
	v_add_u32_e32 v7, 0x13b, v3
	v_lshlrev_b64 v[6:7], 2, v[7:8]
	v_add_co_u32_e32 v6, vcc, v1, v6
	v_addc_co_u32_e32 v7, vcc, v0, v7, vcc
	global_store_dword v[6:7], v5, off
	v_add_u32_e32 v7, 0x17a, v3
	;; [unrolled: 13-line block ×8, first 2 shown]
	ds_read2_b32 v[4:5], v2 offset0:110 offset1:173
	v_lshlrev_b64 v[6:7], 2, v[7:8]
	v_add_co_u32_e32 v6, vcc, v1, v6
	v_addc_co_u32_e32 v7, vcc, v0, v7, vcc
	s_waitcnt lgkmcnt(0)
	global_store_dword v[6:7], v4, off
	v_add_u32_e32 v7, 0x4ad, v3
	v_lshlrev_b64 v[6:7], 2, v[7:8]
	v_add_co_u32_e32 v6, vcc, v1, v6
	v_addc_co_u32_e32 v7, vcc, v0, v7, vcc
	v_cmp_eq_u32_e32 vcc, 62, v3
	global_store_dword v[6:7], v5, off
	s_and_b64 exec, exec, vcc
	s_cbranch_execz .LBB0_32
; %bb.31:
	v_mov_b32_e32 v2, 0
	ds_read_b32 v3, v2 offset:5040
	v_add_co_u32_e32 v1, vcc, 0x1000, v1
	v_addc_co_u32_e32 v2, vcc, 0, v0, vcc
	s_waitcnt lgkmcnt(0)
	global_store_dword v[1:2], v3, off offset:944
.LBB0_32:
	s_endpgm
	.section	.rodata,"a",@progbits
	.p2align	6, 0x0
	.amdhsa_kernel fft_rtc_fwd_len1260_factors_2_2_3_3_5_7_wgs_63_tpt_63_halfLds_half_op_CI_CI_unitstride_sbrr_R2C_dirReg
		.amdhsa_group_segment_fixed_size 0
		.amdhsa_private_segment_fixed_size 0
		.amdhsa_kernarg_size 104
		.amdhsa_user_sgpr_count 6
		.amdhsa_user_sgpr_private_segment_buffer 1
		.amdhsa_user_sgpr_dispatch_ptr 0
		.amdhsa_user_sgpr_queue_ptr 0
		.amdhsa_user_sgpr_kernarg_segment_ptr 1
		.amdhsa_user_sgpr_dispatch_id 0
		.amdhsa_user_sgpr_flat_scratch_init 0
		.amdhsa_user_sgpr_private_segment_size 0
		.amdhsa_uses_dynamic_stack 0
		.amdhsa_system_sgpr_private_segment_wavefront_offset 0
		.amdhsa_system_sgpr_workgroup_id_x 1
		.amdhsa_system_sgpr_workgroup_id_y 0
		.amdhsa_system_sgpr_workgroup_id_z 0
		.amdhsa_system_sgpr_workgroup_info 0
		.amdhsa_system_vgpr_workitem_id 0
		.amdhsa_next_free_vgpr 115
		.amdhsa_next_free_sgpr 28
		.amdhsa_reserve_vcc 1
		.amdhsa_reserve_flat_scratch 0
		.amdhsa_float_round_mode_32 0
		.amdhsa_float_round_mode_16_64 0
		.amdhsa_float_denorm_mode_32 3
		.amdhsa_float_denorm_mode_16_64 3
		.amdhsa_dx10_clamp 1
		.amdhsa_ieee_mode 1
		.amdhsa_fp16_overflow 0
		.amdhsa_exception_fp_ieee_invalid_op 0
		.amdhsa_exception_fp_denorm_src 0
		.amdhsa_exception_fp_ieee_div_zero 0
		.amdhsa_exception_fp_ieee_overflow 0
		.amdhsa_exception_fp_ieee_underflow 0
		.amdhsa_exception_fp_ieee_inexact 0
		.amdhsa_exception_int_div_zero 0
	.end_amdhsa_kernel
	.text
.Lfunc_end0:
	.size	fft_rtc_fwd_len1260_factors_2_2_3_3_5_7_wgs_63_tpt_63_halfLds_half_op_CI_CI_unitstride_sbrr_R2C_dirReg, .Lfunc_end0-fft_rtc_fwd_len1260_factors_2_2_3_3_5_7_wgs_63_tpt_63_halfLds_half_op_CI_CI_unitstride_sbrr_R2C_dirReg
                                        ; -- End function
	.section	.AMDGPU.csdata,"",@progbits
; Kernel info:
; codeLenInByte = 15864
; NumSgprs: 32
; NumVgprs: 115
; ScratchSize: 0
; MemoryBound: 0
; FloatMode: 240
; IeeeMode: 1
; LDSByteSize: 0 bytes/workgroup (compile time only)
; SGPRBlocks: 3
; VGPRBlocks: 28
; NumSGPRsForWavesPerEU: 32
; NumVGPRsForWavesPerEU: 115
; Occupancy: 2
; WaveLimiterHint : 1
; COMPUTE_PGM_RSRC2:SCRATCH_EN: 0
; COMPUTE_PGM_RSRC2:USER_SGPR: 6
; COMPUTE_PGM_RSRC2:TRAP_HANDLER: 0
; COMPUTE_PGM_RSRC2:TGID_X_EN: 1
; COMPUTE_PGM_RSRC2:TGID_Y_EN: 0
; COMPUTE_PGM_RSRC2:TGID_Z_EN: 0
; COMPUTE_PGM_RSRC2:TIDIG_COMP_CNT: 0
	.type	__hip_cuid_8261a53fc4bf8393,@object ; @__hip_cuid_8261a53fc4bf8393
	.section	.bss,"aw",@nobits
	.globl	__hip_cuid_8261a53fc4bf8393
__hip_cuid_8261a53fc4bf8393:
	.byte	0                               ; 0x0
	.size	__hip_cuid_8261a53fc4bf8393, 1

	.ident	"AMD clang version 19.0.0git (https://github.com/RadeonOpenCompute/llvm-project roc-6.4.0 25133 c7fe45cf4b819c5991fe208aaa96edf142730f1d)"
	.section	".note.GNU-stack","",@progbits
	.addrsig
	.addrsig_sym __hip_cuid_8261a53fc4bf8393
	.amdgpu_metadata
---
amdhsa.kernels:
  - .args:
      - .actual_access:  read_only
        .address_space:  global
        .offset:         0
        .size:           8
        .value_kind:     global_buffer
      - .offset:         8
        .size:           8
        .value_kind:     by_value
      - .actual_access:  read_only
        .address_space:  global
        .offset:         16
        .size:           8
        .value_kind:     global_buffer
      - .actual_access:  read_only
        .address_space:  global
        .offset:         24
        .size:           8
        .value_kind:     global_buffer
      - .actual_access:  read_only
        .address_space:  global
        .offset:         32
        .size:           8
        .value_kind:     global_buffer
      - .offset:         40
        .size:           8
        .value_kind:     by_value
      - .actual_access:  read_only
        .address_space:  global
        .offset:         48
        .size:           8
        .value_kind:     global_buffer
      - .actual_access:  read_only
        .address_space:  global
        .offset:         56
        .size:           8
        .value_kind:     global_buffer
      - .offset:         64
        .size:           4
        .value_kind:     by_value
      - .actual_access:  read_only
        .address_space:  global
        .offset:         72
        .size:           8
        .value_kind:     global_buffer
      - .actual_access:  read_only
        .address_space:  global
        .offset:         80
        .size:           8
        .value_kind:     global_buffer
      - .actual_access:  read_only
        .address_space:  global
        .offset:         88
        .size:           8
        .value_kind:     global_buffer
      - .actual_access:  write_only
        .address_space:  global
        .offset:         96
        .size:           8
        .value_kind:     global_buffer
    .group_segment_fixed_size: 0
    .kernarg_segment_align: 8
    .kernarg_segment_size: 104
    .language:       OpenCL C
    .language_version:
      - 2
      - 0
    .max_flat_workgroup_size: 63
    .name:           fft_rtc_fwd_len1260_factors_2_2_3_3_5_7_wgs_63_tpt_63_halfLds_half_op_CI_CI_unitstride_sbrr_R2C_dirReg
    .private_segment_fixed_size: 0
    .sgpr_count:     32
    .sgpr_spill_count: 0
    .symbol:         fft_rtc_fwd_len1260_factors_2_2_3_3_5_7_wgs_63_tpt_63_halfLds_half_op_CI_CI_unitstride_sbrr_R2C_dirReg.kd
    .uniform_work_group_size: 1
    .uses_dynamic_stack: false
    .vgpr_count:     115
    .vgpr_spill_count: 0
    .wavefront_size: 64
amdhsa.target:   amdgcn-amd-amdhsa--gfx906
amdhsa.version:
  - 1
  - 2
...

	.end_amdgpu_metadata
